;; amdgpu-corpus repo=ROCm/rocFFT kind=compiled arch=gfx1030 opt=O3
	.text
	.amdgcn_target "amdgcn-amd-amdhsa--gfx1030"
	.amdhsa_code_object_version 6
	.protected	bluestein_single_back_len150_dim1_half_op_CI_CI ; -- Begin function bluestein_single_back_len150_dim1_half_op_CI_CI
	.globl	bluestein_single_back_len150_dim1_half_op_CI_CI
	.p2align	8
	.type	bluestein_single_back_len150_dim1_half_op_CI_CI,@function
bluestein_single_back_len150_dim1_half_op_CI_CI: ; @bluestein_single_back_len150_dim1_half_op_CI_CI
; %bb.0:
	s_load_dwordx4 s[16:19], s[4:5], 0x28
	v_mul_u32_u24_e32 v1, 0x3334, v0
	s_mov_b32 s0, exec_lo
	v_lshrrev_b32_e32 v1, 16, v1
	v_mad_u64_u32 v[16:17], null, s6, 12, v[1:2]
	v_mov_b32_e32 v17, 0
	s_waitcnt lgkmcnt(0)
	v_cmpx_gt_u64_e64 s[16:17], v[16:17]
	s_cbranch_execz .LBB0_2
; %bb.1:
	s_clause 0x1
	s_load_dwordx4 s[8:11], s[4:5], 0x18
	s_load_dwordx4 s[0:3], s[4:5], 0x0
	v_mul_lo_u16 v1, v1, 5
	s_load_dwordx2 s[4:5], s[4:5], 0x38
	v_sub_nc_u16 v0, v0, v1
	v_and_b32_e32 v87, 0xffff, v0
	v_mul_lo_u16 v0, v0, 10
	v_or_b32_e32 v78, 0x78, v87
	v_or_b32_e32 v69, 0x50, v87
	;; [unrolled: 1-line block ×3, first 2 shown]
	s_waitcnt lgkmcnt(0)
	s_load_dwordx4 s[12:15], s[8:9], 0x0
	v_lshlrev_b32_e32 v37, 2, v87
	s_add_u32 s6, s0, 0x258
	s_clause 0x2
	global_load_dword v91, v37, s[0:1]
	global_load_dword v82, v37, s[0:1] offset:480
	global_load_dword v74, v37, s[0:1] offset:320
	s_addc_u32 s7, s1, 0
	v_and_b32_e32 v0, 0xffff, v0
	s_waitcnt lgkmcnt(0)
	v_mad_u64_u32 v[1:2], null, s14, v16, 0
	v_mad_u64_u32 v[3:4], null, s12, v87, 0
	;; [unrolled: 1-line block ×9, first 2 shown]
	v_mov_b32_e32 v2, v11
	v_mad_u64_u32 v[17:18], null, s13, v62, v[10:11]
	v_mov_b32_e32 v4, v12
	v_mov_b32_e32 v6, v13
	v_lshlrev_b64 v[1:2], 2, v[1:2]
	v_mov_b32_e32 v8, v14
	s_mul_i32 s9, s13, 60
	v_lshlrev_b64 v[3:4], 2, v[3:4]
	v_lshlrev_b64 v[5:6], 2, v[5:6]
	v_mov_b32_e32 v10, v17
	v_add_co_u32 v11, vcc_lo, s18, v1
	v_add_co_ci_u32_e32 v12, vcc_lo, s19, v2, vcc_lo
	v_lshlrev_b64 v[7:8], 2, v[7:8]
	v_add_co_u32 v3, vcc_lo, v11, v3
	v_add_co_ci_u32_e32 v4, vcc_lo, v12, v4, vcc_lo
	v_lshlrev_b64 v[1:2], 2, v[9:10]
	v_add_co_u32 v5, vcc_lo, v11, v5
	v_add_co_ci_u32_e32 v6, vcc_lo, v12, v6, vcc_lo
	v_add_co_u32 v7, vcc_lo, v11, v7
	v_add_co_ci_u32_e32 v8, vcc_lo, v12, v8, vcc_lo
	v_add_co_u32 v1, vcc_lo, v11, v1
	s_mul_hi_u32 s14, s12, 60
	s_mul_i32 s8, s12, 60
	v_add_co_ci_u32_e32 v2, vcc_lo, v12, v2, vcc_lo
	s_add_i32 s9, s14, s9
	s_clause 0x2
	global_load_dword v9, v[3:4], off
	global_load_dword v10, v[5:6], off
	;; [unrolled: 1-line block ×3, first 2 shown]
	v_add_co_u32 v3, vcc_lo, v3, s8
	v_add_co_ci_u32_e32 v4, vcc_lo, s9, v4, vcc_lo
	global_load_dword v8, v[1:2], off
	s_clause 0x1
	global_load_dword v65, v37, s[0:1] offset:160
	global_load_dword v90, v37, s[0:1] offset:60
	global_load_dword v11, v[3:4], off
	v_add_co_u32 v1, vcc_lo, v3, s8
	v_add_co_ci_u32_e32 v2, vcc_lo, s9, v4, vcc_lo
	global_load_dword v89, v37, s[0:1] offset:120
	global_load_dword v12, v[1:2], off
	v_add_co_u32 v1, vcc_lo, v1, s8
	v_add_co_ci_u32_e32 v2, vcc_lo, s9, v2, vcc_lo
	s_clause 0x2
	global_load_dword v88, v37, s[0:1] offset:180
	global_load_dword v86, v37, s[0:1] offset:240
	;; [unrolled: 1-line block ×3, first 2 shown]
	global_load_dword v13, v[1:2], off
	v_add_co_u32 v1, vcc_lo, v1, s8
	v_add_co_ci_u32_e32 v2, vcc_lo, s9, v2, vcc_lo
	s_mul_i32 s14, s13, 0x78
	s_mul_hi_u32 s15, s12, 0x78
	s_mul_i32 s16, s12, 0x78
	global_load_dword v14, v[1:2], off
	v_add_co_u32 v1, vcc_lo, v1, s8
	v_add_co_ci_u32_e32 v2, vcc_lo, s9, v2, vcc_lo
	s_add_i32 s15, s15, s14
	v_add_co_u32 v3, vcc_lo, v1, s8
	v_add_co_ci_u32_e32 v4, vcc_lo, s9, v2, vcc_lo
	global_load_dword v15, v[1:2], off
	v_add_co_u32 v1, vcc_lo, v3, s8
	v_add_co_ci_u32_e32 v2, vcc_lo, s9, v4, vcc_lo
	global_load_dword v17, v[3:4], off
	;; [unrolled: 3-line block ×3, first 2 shown]
	s_mulk_i32 s13, 0xfdf8
	s_clause 0x2
	global_load_dword v84, v37, s[0:1] offset:360
	global_load_dword v83, v37, s[0:1] offset:420
	;; [unrolled: 1-line block ×3, first 2 shown]
	v_mad_u64_u32 v[1:2], null, 0xfffffdf8, s12, v[3:4]
	s_sub_i32 s13, s13, s12
	global_load_dword v19, v[3:4], off
	global_load_dword v76, v37, s[0:1] offset:200
	v_add_nc_u32_e32 v2, s13, v2
	v_add_co_u32 v3, vcc_lo, v1, s8
	v_add_co_ci_u32_e32 v4, vcc_lo, s9, v2, vcc_lo
	s_clause 0x1
	global_load_dword v75, v37, s[0:1] offset:260
	global_load_dword v80, v37, s[0:1] offset:20
	global_load_dword v20, v[1:2], off
	global_load_dword v79, v37, s[0:1] offset:80
	global_load_dword v21, v[3:4], off
	v_add_co_u32 v1, vcc_lo, v3, s8
	v_add_co_ci_u32_e32 v2, vcc_lo, s9, v4, vcc_lo
	s_clause 0x1
	global_load_dword v77, v37, s[0:1] offset:140
	global_load_dword v73, v37, s[0:1] offset:380
	v_add_co_u32 v3, vcc_lo, v1, s8
	v_add_co_ci_u32_e32 v4, vcc_lo, s9, v2, vcc_lo
	global_load_dword v22, v[1:2], off
	v_add_co_u32 v1, vcc_lo, v3, s8
	v_add_co_ci_u32_e32 v2, vcc_lo, s9, v4, vcc_lo
	global_load_dword v23, v[3:4], off
	;; [unrolled: 3-line block ×5, first 2 shown]
	global_load_dword v72, v37, s[0:1] offset:440
	v_add_co_u32 v5, vcc_lo, v3, s8
	v_add_co_ci_u32_e32 v6, vcc_lo, s9, v4, vcc_lo
	v_mad_u64_u32 v[1:2], null, 0xfffffdf8, s12, v[5:6]
	global_load_dword v70, v37, s[0:1] offset:500
	global_load_dword v27, v[3:4], off
	s_clause 0x1
	global_load_dword v68, v37, s[0:1] offset:560
	global_load_dword v66, v37, s[0:1] offset:100
	global_load_dword v5, v[5:6], off
	global_load_dword v67, v37, s[0:1] offset:40
	v_add_nc_u32_e32 v2, s13, v2
	v_add_co_u32 v3, vcc_lo, v1, s8
	v_add_co_ci_u32_e32 v4, vcc_lo, s9, v2, vcc_lo
	global_load_dword v6, v[1:2], off
	v_add_co_u32 v1, vcc_lo, v3, s16
	v_add_co_ci_u32_e32 v2, vcc_lo, s15, v4, vcc_lo
	global_load_dword v28, v[3:4], off
	global_load_dword v63, v37, s[0:1] offset:280
	global_load_dword v29, v[1:2], off
	v_add_co_u32 v1, vcc_lo, v1, s8
	v_add_co_ci_u32_e32 v2, vcc_lo, s9, v2, vcc_lo
	global_load_dword v64, v37, s[0:1] offset:220
	v_add_co_u32 v3, vcc_lo, v1, s8
	v_add_co_ci_u32_e32 v4, vcc_lo, s9, v2, vcc_lo
	global_load_dword v30, v[1:2], off
	s_clause 0x1
	global_load_dword v59, v37, s[0:1] offset:460
	global_load_dword v60, v37, s[0:1] offset:400
	global_load_dword v32, v[3:4], off
	v_add_co_u32 v1, vcc_lo, v3, s8
	v_add_co_ci_u32_e32 v2, vcc_lo, s9, v4, vcc_lo
	global_load_dword v61, v37, s[0:1] offset:340
	v_add_co_u32 v3, vcc_lo, v1, s8
	v_add_co_ci_u32_e32 v4, vcc_lo, s9, v2, vcc_lo
	global_load_dword v33, v[1:2], off
	v_add_co_u32 v1, vcc_lo, v3, s8
	v_add_co_ci_u32_e32 v2, vcc_lo, s9, v4, vcc_lo
	global_load_dword v34, v[3:4], off
	;; [unrolled: 3-line block ×3, first 2 shown]
	global_load_dword v2, v[3:4], off
	s_clause 0x1
	global_load_dword v57, v37, s[0:1] offset:580
	global_load_dword v58, v37, s[0:1] offset:520
	v_mul_hi_u32 v3, 0xaaaaaaab, v16
	s_load_dwordx4 s[8:11], s[10:11], 0x0
	v_lshrrev_b32_e32 v3, 3, v3
	v_mul_lo_u32 v3, v3, 12
	v_sub_nc_u32_e32 v3, v16, v3
	v_mul_u32_u24_e32 v3, 0x96, v3
	v_lshlrev_b32_e32 v31, 2, v3
	v_add_nc_u32_e32 v71, v37, v31
	v_lshl_add_u32 v92, v0, 2, v31
	s_waitcnt vmcnt(56)
	v_lshrrev_b32_e32 v3, 16, v9
	v_mul_f16_sdwa v4, v91, v9 dst_sel:DWORD dst_unused:UNUSED_PAD src0_sel:WORD_1 src1_sel:DWORD
	s_waitcnt vmcnt(55)
	v_lshrrev_b32_e32 v35, 16, v10
	v_mul_f16_sdwa v36, v82, v10 dst_sel:DWORD dst_unused:UNUSED_PAD src0_sel:WORD_1 src1_sel:DWORD
	;; [unrolled: 3-line block ×3, first 2 shown]
	s_waitcnt vmcnt(53)
	v_lshrrev_b32_e32 v40, 16, v8
	s_waitcnt vmcnt(52)
	v_mul_f16_sdwa v41, v65, v8 dst_sel:DWORD dst_unused:UNUSED_PAD src0_sel:WORD_1 src1_sel:DWORD
	v_mul_f16_sdwa v42, v91, v3 dst_sel:DWORD dst_unused:UNUSED_PAD src0_sel:WORD_1 src1_sel:DWORD
	v_fma_f16 v3, v91, v3, -v4
	s_waitcnt vmcnt(50)
	v_lshrrev_b32_e32 v4, 16, v11
	v_mul_f16_sdwa v43, v90, v11 dst_sel:DWORD dst_unused:UNUSED_PAD src0_sel:WORD_1 src1_sel:DWORD
	v_mul_f16_sdwa v44, v82, v35 dst_sel:DWORD dst_unused:UNUSED_PAD src0_sel:WORD_1 src1_sel:DWORD
	v_fma_f16 v35, v82, v35, -v36
	v_mul_f16_sdwa v36, v74, v38 dst_sel:DWORD dst_unused:UNUSED_PAD src0_sel:WORD_1 src1_sel:DWORD
	v_fma_f16 v38, v74, v38, -v39
	;; [unrolled: 2-line block ×3, first 2 shown]
	v_fmac_f16_e32 v42, v91, v9
	v_mul_f16_sdwa v9, v90, v4 dst_sel:DWORD dst_unused:UNUSED_PAD src0_sel:WORD_1 src1_sel:DWORD
	s_waitcnt vmcnt(48)
	v_lshrrev_b32_e32 v41, 16, v12
	v_fma_f16 v4, v90, v4, -v43
	v_mul_f16_sdwa v43, v89, v12 dst_sel:DWORD dst_unused:UNUSED_PAD src0_sel:WORD_1 src1_sel:DWORD
	v_fmac_f16_e32 v44, v82, v10
	v_fmac_f16_e32 v36, v74, v7
	;; [unrolled: 1-line block ×3, first 2 shown]
	v_mul_f16_sdwa v7, v89, v41 dst_sel:DWORD dst_unused:UNUSED_PAD src0_sel:WORD_1 src1_sel:DWORD
	s_waitcnt vmcnt(44)
	v_lshrrev_b32_e32 v10, 16, v13
	v_mul_f16_sdwa v11, v88, v13 dst_sel:DWORD dst_unused:UNUSED_PAD src0_sel:WORD_1 src1_sel:DWORD
	v_fmac_f16_e32 v39, v65, v8
	v_fma_f16 v8, v89, v41, -v43
	v_pack_b32_f16 v35, v44, v35
	v_pack_b32_f16 v4, v9, v4
	v_fmac_f16_e32 v7, v89, v12
	v_mul_f16_sdwa v9, v88, v10 dst_sel:DWORD dst_unused:UNUSED_PAD src0_sel:WORD_1 src1_sel:DWORD
	v_fma_f16 v10, v88, v10, -v11
	s_waitcnt vmcnt(43)
	v_lshrrev_b32_e32 v11, 16, v14
	v_mul_f16_sdwa v12, v86, v14 dst_sel:DWORD dst_unused:UNUSED_PAD src0_sel:WORD_1 src1_sel:DWORD
	ds_write_b32 v71, v35 offset:480
	ds_write_b32 v71, v4 offset:60
	v_pack_b32_f16 v4, v7, v8
	v_fmac_f16_e32 v9, v88, v13
	v_mul_f16_sdwa v7, v86, v11 dst_sel:DWORD dst_unused:UNUSED_PAD src0_sel:WORD_1 src1_sel:DWORD
	v_fma_f16 v8, v86, v11, -v12
	s_waitcnt vmcnt(42)
	v_lshrrev_b32_e32 v11, 16, v15
	v_mul_f16_sdwa v12, v85, v15 dst_sel:DWORD dst_unused:UNUSED_PAD src0_sel:WORD_1 src1_sel:DWORD
	ds_write_b32 v71, v4 offset:120
	v_pack_b32_f16 v4, v9, v10
	v_fmac_f16_e32 v7, v86, v14
	v_mul_f16_sdwa v9, v85, v11 dst_sel:DWORD dst_unused:UNUSED_PAD src0_sel:WORD_1 src1_sel:DWORD
	v_fma_f16 v10, v85, v11, -v12
	s_waitcnt vmcnt(41)
	v_lshrrev_b32_e32 v11, 16, v17
	s_waitcnt vmcnt(39)
	v_mul_f16_sdwa v12, v84, v17 dst_sel:DWORD dst_unused:UNUSED_PAD src0_sel:WORD_1 src1_sel:DWORD
	ds_write_b32 v71, v4 offset:180
	v_pack_b32_f16 v4, v7, v8
	v_fmac_f16_e32 v9, v85, v15
	v_lshrrev_b32_e32 v8, 16, v18
	v_mul_f16_sdwa v7, v84, v11 dst_sel:DWORD dst_unused:UNUSED_PAD src0_sel:WORD_1 src1_sel:DWORD
	v_fma_f16 v11, v84, v11, -v12
	s_waitcnt vmcnt(38)
	v_mul_f16_sdwa v12, v83, v18 dst_sel:DWORD dst_unused:UNUSED_PAD src0_sel:WORD_1 src1_sel:DWORD
	ds_write_b32 v71, v4 offset:240
	v_pack_b32_f16 v4, v9, v10
	v_mul_f16_sdwa v9, v83, v8 dst_sel:DWORD dst_unused:UNUSED_PAD src0_sel:WORD_1 src1_sel:DWORD
	s_waitcnt vmcnt(36)
	v_lshrrev_b32_e32 v10, 16, v19
	v_fmac_f16_e32 v7, v84, v17
	v_fma_f16 v8, v83, v8, -v12
	v_mul_f16_sdwa v12, v81, v19 dst_sel:DWORD dst_unused:UNUSED_PAD src0_sel:WORD_1 src1_sel:DWORD
	v_fmac_f16_e32 v9, v83, v18
	v_mul_f16_sdwa v13, v81, v10 dst_sel:DWORD dst_unused:UNUSED_PAD src0_sel:WORD_1 src1_sel:DWORD
	ds_write_b32 v71, v4 offset:300
	v_pack_b32_f16 v4, v7, v11
	v_fma_f16 v7, v81, v10, -v12
	v_pack_b32_f16 v8, v9, v8
	v_fmac_f16_e32 v13, v81, v19
	s_waitcnt vmcnt(32)
	v_lshrrev_b32_e32 v9, 16, v20
	ds_write_b32 v71, v4 offset:360
	v_mul_f16_sdwa v4, v80, v20 dst_sel:DWORD dst_unused:UNUSED_PAD src0_sel:WORD_1 src1_sel:DWORD
	ds_write_b32 v71, v8 offset:420
	v_pack_b32_f16 v7, v13, v7
	v_mul_f16_sdwa v8, v80, v9 dst_sel:DWORD dst_unused:UNUSED_PAD src0_sel:WORD_1 src1_sel:DWORD
	s_waitcnt vmcnt(30)
	v_lshrrev_b32_e32 v10, 16, v21
	v_fma_f16 v4, v80, v9, -v4
	v_mul_f16_sdwa v9, v79, v21 dst_sel:DWORD dst_unused:UNUSED_PAD src0_sel:WORD_1 src1_sel:DWORD
	ds_write_b32 v71, v7 offset:540
	v_fmac_f16_e32 v8, v80, v20
	v_mul_f16_sdwa v7, v79, v10 dst_sel:DWORD dst_unused:UNUSED_PAD src0_sel:WORD_1 src1_sel:DWORD
	s_waitcnt vmcnt(27)
	v_lshrrev_b32_e32 v11, 16, v22
	v_mul_f16_sdwa v12, v77, v22 dst_sel:DWORD dst_unused:UNUSED_PAD src0_sel:WORD_1 src1_sel:DWORD
	v_pack_b32_f16 v3, v42, v3
	v_fma_f16 v9, v79, v10, -v9
	v_pack_b32_f16 v4, v8, v4
	v_fmac_f16_e32 v7, v79, v21
	v_mul_f16_sdwa v8, v77, v11 dst_sel:DWORD dst_unused:UNUSED_PAD src0_sel:WORD_1 src1_sel:DWORD
	v_fma_f16 v10, v77, v11, -v12
	s_waitcnt vmcnt(26)
	v_lshrrev_b32_e32 v11, 16, v23
	v_mul_f16_sdwa v12, v76, v23 dst_sel:DWORD dst_unused:UNUSED_PAD src0_sel:WORD_1 src1_sel:DWORD
	ds_write2_b32 v71, v3, v4 offset1:5
	v_pack_b32_f16 v3, v7, v9
	v_fmac_f16_e32 v8, v77, v22
	v_mul_f16_sdwa v4, v76, v11 dst_sel:DWORD dst_unused:UNUSED_PAD src0_sel:WORD_1 src1_sel:DWORD
	s_waitcnt vmcnt(25)
	v_lshrrev_b32_e32 v7, 16, v24
	v_fma_f16 v9, v76, v11, -v12
	v_mul_f16_sdwa v11, v75, v24 dst_sel:DWORD dst_unused:UNUSED_PAD src0_sel:WORD_1 src1_sel:DWORD
	v_pack_b32_f16 v8, v8, v10
	v_fmac_f16_e32 v4, v76, v23
	v_mul_f16_sdwa v10, v75, v7 dst_sel:DWORD dst_unused:UNUSED_PAD src0_sel:WORD_1 src1_sel:DWORD
	s_waitcnt vmcnt(24)
	v_lshrrev_b32_e32 v12, 16, v25
	v_mul_f16_sdwa v13, v73, v25 dst_sel:DWORD dst_unused:UNUSED_PAD src0_sel:WORD_1 src1_sel:DWORD
	v_pack_b32_f16 v36, v36, v38
	v_pack_b32_f16 v38, v39, v40
	v_fma_f16 v7, v75, v7, -v11
	v_pack_b32_f16 v4, v4, v9
	v_fmac_f16_e32 v10, v75, v24
	v_mul_f16_sdwa v9, v73, v12 dst_sel:DWORD dst_unused:UNUSED_PAD src0_sel:WORD_1 src1_sel:DWORD
	v_fma_f16 v11, v73, v12, -v13
	s_waitcnt vmcnt(23)
	v_lshrrev_b32_e32 v12, 16, v26
	s_waitcnt vmcnt(22)
	v_mul_f16_sdwa v13, v72, v26 dst_sel:DWORD dst_unused:UNUSED_PAD src0_sel:WORD_1 src1_sel:DWORD
	ds_write2_b32 v71, v8, v38 offset0:35 offset1:40
	v_pack_b32_f16 v7, v10, v7
	v_fmac_f16_e32 v9, v73, v25
	v_mul_f16_sdwa v8, v72, v12 dst_sel:DWORD dst_unused:UNUSED_PAD src0_sel:WORD_1 src1_sel:DWORD
	v_fma_f16 v10, v72, v12, -v13
	s_waitcnt vmcnt(20)
	v_lshrrev_b32_e32 v12, 16, v27
	v_mul_f16_sdwa v13, v70, v27 dst_sel:DWORD dst_unused:UNUSED_PAD src0_sel:WORD_1 src1_sel:DWORD
	v_pack_b32_f16 v9, v9, v11
	s_waitcnt vmcnt(17)
	v_lshrrev_b32_e32 v11, 16, v5
	v_fmac_f16_e32 v8, v72, v26
	v_mul_f16_sdwa v14, v70, v12 dst_sel:DWORD dst_unused:UNUSED_PAD src0_sel:WORD_1 src1_sel:DWORD
	v_fma_f16 v12, v70, v12, -v13
	v_mul_f16_sdwa v13, v68, v5 dst_sel:DWORD dst_unused:UNUSED_PAD src0_sel:WORD_1 src1_sel:DWORD
	v_mul_f16_sdwa v15, v68, v11 dst_sel:DWORD dst_unused:UNUSED_PAD src0_sel:WORD_1 src1_sel:DWORD
	v_pack_b32_f16 v8, v8, v10
	v_fmac_f16_e32 v14, v70, v27
	s_waitcnt vmcnt(15)
	v_lshrrev_b32_e32 v10, 16, v6
	v_fma_f16 v11, v68, v11, -v13
	v_fmac_f16_e32 v15, v68, v5
	v_mul_f16_sdwa v5, v67, v6 dst_sel:DWORD dst_unused:UNUSED_PAD src0_sel:WORD_1 src1_sel:DWORD
	v_pack_b32_f16 v12, v14, v12
	v_mul_f16_sdwa v13, v67, v10 dst_sel:DWORD dst_unused:UNUSED_PAD src0_sel:WORD_1 src1_sel:DWORD
	s_waitcnt vmcnt(14)
	v_lshrrev_b32_e32 v14, 16, v28
	v_pack_b32_f16 v11, v15, v11
	v_fma_f16 v5, v67, v10, -v5
	v_mul_f16_sdwa v10, v66, v28 dst_sel:DWORD dst_unused:UNUSED_PAD src0_sel:WORD_1 src1_sel:DWORD
	v_fmac_f16_e32 v13, v67, v6
	v_mul_f16_sdwa v6, v66, v14 dst_sel:DWORD dst_unused:UNUSED_PAD src0_sel:WORD_1 src1_sel:DWORD
	s_waitcnt vmcnt(12)
	v_lshrrev_b32_e32 v15, 16, v29
	s_waitcnt vmcnt(11)
	v_mul_f16_sdwa v17, v64, v29 dst_sel:DWORD dst_unused:UNUSED_PAD src0_sel:WORD_1 src1_sel:DWORD
	v_fma_f16 v10, v66, v14, -v10
	v_pack_b32_f16 v5, v13, v5
	v_fmac_f16_e32 v6, v66, v28
	v_mul_f16_sdwa v13, v64, v15 dst_sel:DWORD dst_unused:UNUSED_PAD src0_sel:WORD_1 src1_sel:DWORD
	v_fma_f16 v14, v64, v15, -v17
	s_waitcnt vmcnt(10)
	v_lshrrev_b32_e32 v15, 16, v30
	v_mul_f16_sdwa v17, v63, v30 dst_sel:DWORD dst_unused:UNUSED_PAD src0_sel:WORD_1 src1_sel:DWORD
	ds_write_b32 v71, v5 offset:40
	v_pack_b32_f16 v5, v6, v10
	v_fmac_f16_e32 v13, v64, v29
	v_mul_f16_sdwa v6, v63, v15 dst_sel:DWORD dst_unused:UNUSED_PAD src0_sel:WORD_1 src1_sel:DWORD
	v_fma_f16 v10, v63, v15, -v17
	s_waitcnt vmcnt(7)
	v_lshrrev_b32_e32 v15, 16, v32
	s_waitcnt vmcnt(6)
	v_mul_f16_sdwa v17, v61, v32 dst_sel:DWORD dst_unused:UNUSED_PAD src0_sel:WORD_1 src1_sel:DWORD
	ds_write2_b32 v71, v3, v5 offset0:20 offset1:25
	v_pack_b32_f16 v3, v13, v14
	v_fmac_f16_e32 v6, v63, v30
	v_mul_f16_sdwa v5, v61, v15 dst_sel:DWORD dst_unused:UNUSED_PAD src0_sel:WORD_1 src1_sel:DWORD
	v_fma_f16 v13, v61, v15, -v17
	s_waitcnt vmcnt(5)
	v_lshrrev_b32_e32 v14, 16, v33
	v_mul_f16_sdwa v15, v60, v33 dst_sel:DWORD dst_unused:UNUSED_PAD src0_sel:WORD_1 src1_sel:DWORD
	ds_write2_b32 v71, v4, v3 offset0:50 offset1:55
	v_pack_b32_f16 v3, v6, v10
	s_waitcnt vmcnt(4)
	v_lshrrev_b32_e32 v10, 16, v34
	v_mul_f16_sdwa v4, v60, v14 dst_sel:DWORD dst_unused:UNUSED_PAD src0_sel:WORD_1 src1_sel:DWORD
	v_fma_f16 v6, v60, v14, -v15
	v_mul_f16_sdwa v14, v59, v34 dst_sel:DWORD dst_unused:UNUSED_PAD src0_sel:WORD_1 src1_sel:DWORD
	ds_write2_b32 v71, v7, v3 offset0:65 offset1:70
	s_waitcnt vmcnt(3)
	v_lshrrev_b32_e32 v3, 16, v1
	s_waitcnt vmcnt(2)
	v_lshrrev_b32_e32 v15, 16, v2
	v_mul_f16_sdwa v7, v59, v10 dst_sel:DWORD dst_unused:UNUSED_PAD src0_sel:WORD_1 src1_sel:DWORD
	v_fma_f16 v10, v59, v10, -v14
	s_waitcnt vmcnt(0)
	v_mul_f16_sdwa v14, v58, v1 dst_sel:DWORD dst_unused:UNUSED_PAD src0_sel:WORD_1 src1_sel:DWORD
	v_mul_f16_sdwa v17, v58, v3 dst_sel:DWORD dst_unused:UNUSED_PAD src0_sel:WORD_1 src1_sel:DWORD
	;; [unrolled: 1-line block ×4, first 2 shown]
	v_fmac_f16_e32 v5, v61, v32
	v_fmac_f16_e32 v4, v60, v33
	;; [unrolled: 1-line block ×3, first 2 shown]
	v_fma_f16 v3, v58, v3, -v14
	v_fmac_f16_e32 v17, v58, v1
	v_fma_f16 v1, v57, v15, -v18
	v_fmac_f16_e32 v19, v57, v2
	v_pack_b32_f16 v2, v5, v13
	v_pack_b32_f16 v4, v4, v6
	;; [unrolled: 1-line block ×5, first 2 shown]
	ds_write2_b32 v71, v36, v2 offset0:80 offset1:85
	ds_write2_b32 v71, v9, v4 offset0:95 offset1:100
	;; [unrolled: 1-line block ×5, first 2 shown]
	s_waitcnt lgkmcnt(0)
	s_barrier
	buffer_gl0_inv
	ds_read2_b32 v[4:5], v71 offset0:30 offset1:35
	ds_read2_b32 v[8:9], v71 offset0:60 offset1:65
	;; [unrolled: 1-line block ×4, first 2 shown]
	ds_read2_b32 v[10:11], v71 offset1:5
	ds_read2_b32 v[29:30], v71 offset0:20 offset1:25
	ds_read2_b32 v[27:28], v71 offset0:50 offset1:55
	;; [unrolled: 1-line block ×10, first 2 shown]
	v_add_nc_u32_e32 v33, 5, v87
	v_add_nc_u32_e32 v32, 10, v87
	s_waitcnt lgkmcnt(0)
	s_barrier
	buffer_gl0_inv
	v_mul_u32_u24_e32 v34, 10, v33
	v_lshrrev_b32_e32 v99, 16, v29
	v_pk_add_f16 v97, v29, v27
	v_sub_f16_e32 v93, v27, v25
	v_add_f16_e32 v53, v25, v23
	v_add_f16_e32 v94, v27, v21
	v_sub_f16_e32 v40, v5, v9
	v_add_f16_e32 v35, v9, v3
	v_sub_f16_sdwa v36, v5, v7 dst_sel:DWORD dst_unused:UNUSED_PAD src0_sel:WORD_1 src1_sel:WORD_1
	v_add_f16_e32 v41, v5, v7
	v_sub_f16_e32 v43, v9, v5
	v_pk_add_f16 v44, v11, v5
	v_add_f16_sdwa v45, v9, v3 dst_sel:DWORD dst_unused:UNUSED_PAD src0_sel:WORD_1 src1_sel:WORD_1
	v_lshrrev_b32_e32 v46, 16, v11
	v_sub_f16_e32 v47, v5, v7
	v_sub_f16_sdwa v49, v5, v9 dst_sel:DWORD dst_unused:UNUSED_PAD src0_sel:WORD_1 src1_sel:WORD_1
	v_add_f16_sdwa v51, v5, v7 dst_sel:DWORD dst_unused:UNUSED_PAD src0_sel:WORD_1 src1_sel:WORD_1
	v_sub_f16_sdwa v5, v9, v5 dst_sel:DWORD dst_unused:UNUSED_PAD src0_sel:WORD_1 src1_sel:WORD_1
	v_sub_f16_sdwa v52, v3, v7 dst_sel:DWORD dst_unused:UNUSED_PAD src0_sel:WORD_1 src1_sel:WORD_1
	v_add_f16_sdwa v98, v25, v23 dst_sel:DWORD dst_unused:UNUSED_PAD src0_sel:WORD_1 src1_sel:WORD_1
	v_add_f16_sdwa v104, v27, v21 dst_sel:DWORD dst_unused:UNUSED_PAD src0_sel:WORD_1 src1_sel:WORD_1
	v_sub_f16_sdwa v38, v9, v3 dst_sel:DWORD dst_unused:UNUSED_PAD src0_sel:WORD_1 src1_sel:WORD_1
	v_sub_f16_e32 v39, v7, v3
	v_sub_f16_e32 v42, v3, v7
	;; [unrolled: 1-line block ×3, first 2 shown]
	v_sub_f16_sdwa v50, v7, v3 dst_sel:DWORD dst_unused:UNUSED_PAD src0_sel:WORD_1 src1_sel:WORD_1
	v_sub_f16_sdwa v54, v27, v21 dst_sel:DWORD dst_unused:UNUSED_PAD src0_sel:WORD_1 src1_sel:WORD_1
	;; [unrolled: 1-line block ×3, first 2 shown]
	v_sub_f16_e32 v95, v23, v21
	v_sub_f16_e32 v96, v25, v27
	;; [unrolled: 1-line block ×4, first 2 shown]
	v_sub_f16_sdwa v102, v27, v25 dst_sel:DWORD dst_unused:UNUSED_PAD src0_sel:WORD_1 src1_sel:WORD_1
	v_sub_f16_sdwa v27, v25, v27 dst_sel:DWORD dst_unused:UNUSED_PAD src0_sel:WORD_1 src1_sel:WORD_1
	v_add_f16_e32 v106, v17, v14
	v_fma_f16 v45, -0.5, v45, v46
	v_fmac_f16_e32 v46, -0.5, v51
	v_add_f16_e32 v5, v5, v52
	v_fma_f16 v51, -0.5, v98, v99
	v_fmac_f16_e32 v99, -0.5, v104
	v_fma_f16 v52, -0.5, v35, v11
	v_pk_add_f16 v9, v44, v9
	v_fma_f16 v35, -0.5, v53, v29
	v_fma_f16 v29, -0.5, v94, v29
	v_pk_add_f16 v25, v97, v25
	v_sub_f16_e32 v56, v21, v23
	v_sub_f16_sdwa v103, v21, v23 dst_sel:DWORD dst_unused:UNUSED_PAD src0_sel:WORD_1 src1_sel:WORD_1
	v_sub_f16_sdwa v105, v23, v21 dst_sel:DWORD dst_unused:UNUSED_PAD src0_sel:WORD_1 src1_sel:WORD_1
	;; [unrolled: 1-line block ×3, first 2 shown]
	v_add_f16_e32 v39, v40, v39
	v_add_f16_e32 v40, v43, v42
	;; [unrolled: 1-line block ×4, first 2 shown]
	v_fma_f16 v44, -0.5, v106, v0
	v_pk_add_f16 v95, v9, v3
	v_fmamk_f16 v3, v54, 0x3b9c, v35
	v_fmamk_f16 v9, v55, 0xbb9c, v29
	v_fmac_f16_e32 v29, 0x3b9c, v55
	v_pk_add_f16 v98, v25, v23
	v_fmamk_f16 v23, v100, 0xbb9c, v51
	v_fmac_f16_e32 v51, 0x3b9c, v100
	v_fmamk_f16 v25, v101, 0x3b9c, v99
	v_fmac_f16_e32 v99, 0xbb9c, v101
	v_sub_f16_sdwa v108, v17, v14 dst_sel:DWORD dst_unused:UNUSED_PAD src0_sel:WORD_1 src1_sel:WORD_1
	v_sub_f16_e32 v109, v12, v14
	v_sub_f16_e32 v110, v19, v17
	v_add_f16_e32 v43, v93, v56
	v_add_f16_e32 v50, v102, v103
	v_fma_f16 v11, -0.5, v41, v11
	v_add_f16_e32 v27, v27, v105
	v_fmac_f16_e32 v35, 0xbb9c, v54
	v_fmamk_f16 v102, v107, 0x3b9c, v44
	v_fmac_f16_e32 v44, 0xbb9c, v107
	v_fmac_f16_e32 v3, 0x38b4, v55
	;; [unrolled: 1-line block ×5, first 2 shown]
	v_add_f16_e32 v41, v110, v109
	v_fmamk_f16 v94, v38, 0xbb9c, v11
	v_fmac_f16_e32 v11, 0x3b9c, v38
	v_fmamk_f16 v96, v47, 0xbb9c, v45
	v_fmac_f16_e32 v45, 0x3b9c, v47
	;; [unrolled: 2-line block ×3, first 2 shown]
	v_fmac_f16_e32 v35, 0xb8b4, v55
	v_fmac_f16_e32 v9, 0x38b4, v54
	;; [unrolled: 1-line block ×9, first 2 shown]
	v_fmamk_f16 v93, v36, 0x3b9c, v52
	v_fmac_f16_e32 v52, 0xbb9c, v36
	v_fmac_f16_e32 v11, 0xb8b4, v36
	;; [unrolled: 1-line block ×12, first 2 shown]
	v_mul_f16_e32 v41, 0xb4f2, v29
	v_mul_f16_e32 v47, 0xb8b4, v3
	;; [unrolled: 1-line block ×4, first 2 shown]
	v_add_f16_e32 v111, v19, v12
	v_add_f16_sdwa v112, v17, v14 dst_sel:DWORD dst_unused:UNUSED_PAD src0_sel:WORD_1 src1_sel:WORD_1
	v_lshrrev_b32_e32 v113, 16, v0
	v_fmac_f16_e32 v93, 0x38b4, v38
	v_fmac_f16_e32 v52, 0xb8b4, v38
	;; [unrolled: 1-line block ×9, first 2 shown]
	v_mul_f16_e32 v5, 0x3a79, v3
	v_mul_f16_e32 v42, 0xba79, v35
	;; [unrolled: 1-line block ×3, first 2 shown]
	v_fmac_f16_e32 v41, 0x3b9c, v99
	v_fmac_f16_e32 v47, 0x3a79, v23
	;; [unrolled: 1-line block ×4, first 2 shown]
	v_fma_f16 v53, -0.5, v111, v0
	v_fma_f16 v56, -0.5, v112, v113
	v_fmac_f16_e32 v93, 0x34f2, v39
	v_fmac_f16_e32 v52, 0x34f2, v39
	;; [unrolled: 1-line block ×3, first 2 shown]
	v_mul_f16_e32 v36, 0x3b9c, v25
	v_fmac_f16_e32 v5, 0x38b4, v23
	v_fmac_f16_e32 v42, 0x38b4, v51
	;; [unrolled: 1-line block ×3, first 2 shown]
	v_add_f16_e32 v38, v11, v41
	v_add_f16_e32 v40, v96, v47
	;; [unrolled: 1-line block ×4, first 2 shown]
	v_sub_f16_e32 v3, v11, v41
	v_sub_f16_e32 v41, v96, v47
	;; [unrolled: 1-line block ×7, first 2 shown]
	v_fmamk_f16 v103, v108, 0xbb9c, v53
	v_fmac_f16_e32 v36, 0x34f2, v9
	v_add_f16_e32 v29, v93, v5
	v_add_f16_e32 v9, v52, v42
	v_add_f16_e32 v39, v97, v48
	v_sub_f16_e32 v35, v93, v5
	v_sub_f16_e32 v5, v52, v42
	;; [unrolled: 1-line block ×3, first 2 shown]
	v_fmac_f16_e32 v53, 0x3b9c, v108
	v_fmamk_f16 v48, v45, 0xbb9c, v56
	v_sub_f16_e32 v49, v17, v14
	v_sub_f16_sdwa v50, v19, v17 dst_sel:DWORD dst_unused:UNUSED_PAD src0_sel:WORD_1 src1_sel:WORD_1
	v_sub_f16_sdwa v51, v12, v14 dst_sel:DWORD dst_unused:UNUSED_PAD src0_sel:WORD_1 src1_sel:WORD_1
	v_add_f16_e32 v46, v47, v46
	v_add_f16_sdwa v47, v19, v12 dst_sel:DWORD dst_unused:UNUSED_PAD src0_sel:WORD_1 src1_sel:WORD_1
	v_fmac_f16_e32 v56, 0x3b9c, v45
	v_fmac_f16_e32 v103, 0x38b4, v107
	;; [unrolled: 1-line block ×4, first 2 shown]
	v_add_f16_e32 v50, v50, v51
	v_fmac_f16_e32 v113, -0.5, v47
	v_fmac_f16_e32 v56, 0x38b4, v49
	v_sub_f16_sdwa v51, v17, v19 dst_sel:DWORD dst_unused:UNUSED_PAD src0_sel:WORD_1 src1_sel:WORD_1
	v_sub_f16_sdwa v52, v14, v12 dst_sel:DWORD dst_unused:UNUSED_PAD src0_sel:WORD_1 src1_sel:WORD_1
	v_fmac_f16_e32 v103, 0x34f2, v46
	v_fmac_f16_e32 v53, 0x34f2, v46
	;; [unrolled: 1-line block ×3, first 2 shown]
	v_add_f16_e32 v46, v26, v24
	v_fmamk_f16 v47, v49, 0x3b9c, v113
	v_fmac_f16_e32 v56, 0x34f2, v50
	v_add_f16_e32 v50, v51, v52
	v_fmac_f16_e32 v113, 0xbb9c, v49
	v_sub_f16_e32 v52, v22, v24
	v_sub_f16_e32 v55, v28, v26
	v_add_f16_e32 v93, v28, v22
	v_fma_f16 v46, -0.5, v46, v30
	v_sub_f16_sdwa v54, v28, v22 dst_sel:DWORD dst_unused:UNUSED_PAD src0_sel:WORD_1 src1_sel:WORD_1
	v_fmac_f16_e32 v47, 0xb8b4, v45
	v_sub_f16_sdwa v51, v26, v24 dst_sel:DWORD dst_unused:UNUSED_PAD src0_sel:WORD_1 src1_sel:WORD_1
	v_fmac_f16_e32 v113, 0x38b4, v45
	v_add_f16_e32 v45, v55, v52
	v_fma_f16 v52, -0.5, v93, v30
	v_fmamk_f16 v49, v54, 0x3b9c, v46
	v_fmac_f16_e32 v46, 0xbb9c, v54
	v_fmac_f16_e32 v47, 0x34f2, v50
	;; [unrolled: 1-line block ×3, first 2 shown]
	v_fmamk_f16 v50, v51, 0xbb9c, v52
	v_fmac_f16_e32 v52, 0x3b9c, v51
	v_fmac_f16_e32 v49, 0x38b4, v51
	;; [unrolled: 1-line block ×3, first 2 shown]
	v_add_f16_sdwa v51, v26, v24 dst_sel:DWORD dst_unused:UNUSED_PAD src0_sel:WORD_1 src1_sel:WORD_1
	v_fmac_f16_e32 v50, 0x38b4, v54
	v_lshrrev_b32_e32 v93, 16, v30
	v_fmac_f16_e32 v52, 0xb8b4, v54
	v_add_f16_sdwa v54, v28, v22 dst_sel:DWORD dst_unused:UNUSED_PAD src0_sel:WORD_1 src1_sel:WORD_1
	v_add_f16_e32 v27, v94, v36
	v_sub_f16_e32 v36, v94, v36
	v_fmac_f16_e32 v49, 0x34f2, v45
	v_fmac_f16_e32 v46, 0x34f2, v45
	v_sub_f16_e32 v45, v24, v22
	v_sub_f16_e32 v55, v26, v28
	v_fma_f16 v51, -0.5, v51, v93
	v_sub_f16_e32 v94, v26, v24
	v_fmac_f16_e32 v93, -0.5, v54
	v_pk_add_f16 v30, v30, v28
	v_add_f16_e32 v45, v55, v45
	v_sub_f16_e32 v55, v28, v22
	v_sub_f16_sdwa v54, v28, v26 dst_sel:DWORD dst_unused:UNUSED_PAD src0_sel:WORD_1 src1_sel:WORD_1
	v_sub_f16_sdwa v28, v26, v28 dst_sel:DWORD dst_unused:UNUSED_PAD src0_sel:WORD_1 src1_sel:WORD_1
	;; [unrolled: 1-line block ×3, first 2 shown]
	v_fmamk_f16 v97, v94, 0x3b9c, v93
	v_pk_add_f16 v26, v30, v26
	v_fmamk_f16 v30, v55, 0xbb9c, v51
	v_fmac_f16_e32 v93, 0xbb9c, v94
	v_add_f16_e32 v28, v28, v96
	v_sub_f16_sdwa v96, v22, v24 dst_sel:DWORD dst_unused:UNUSED_PAD src0_sel:WORD_1 src1_sel:WORD_1
	v_fmac_f16_e32 v97, 0xb8b4, v55
	v_fmac_f16_e32 v30, 0xb8b4, v94
	;; [unrolled: 1-line block ×4, first 2 shown]
	v_add_f16_e32 v54, v54, v96
	v_fmac_f16_e32 v97, 0x34f2, v28
	v_fmac_f16_e32 v51, 0x3b9c, v55
	;; [unrolled: 1-line block ×3, first 2 shown]
	v_pk_add_f16 v24, v26, v24
	v_fmac_f16_e32 v30, 0x34f2, v54
	v_fmac_f16_e32 v93, 0x34f2, v28
	v_mul_f16_e32 v26, 0x3a79, v49
	v_mul_f16_e32 v28, 0x3b9c, v97
	;; [unrolled: 1-line block ×3, first 2 shown]
	v_fmac_f16_e32 v51, 0x38b4, v94
	v_mul_f16_e32 v49, 0xb8b4, v49
	v_pk_add_f16 v24, v24, v22
	v_fmac_f16_e32 v26, 0x38b4, v30
	v_fmac_f16_e32 v28, 0x34f2, v50
	;; [unrolled: 1-line block ×4, first 2 shown]
	v_mul_f16_e32 v22, 0xba79, v46
	v_mul_f16_e32 v50, 0xbb9c, v50
	;; [unrolled: 1-line block ×3, first 2 shown]
	v_fmac_f16_e32 v49, 0x3a79, v30
	v_add_f16_e32 v30, v8, v2
	v_add_f16_e32 v55, v103, v28
	v_fmac_f16_e32 v22, 0x38b4, v51
	v_mul_f16_e32 v51, 0xba79, v51
	v_fmac_f16_e32 v50, 0x34f2, v97
	v_fmac_f16_e32 v93, 0xbb9c, v52
	v_fma_f16 v30, -0.5, v30, v10
	v_sub_f16_sdwa v94, v4, v6 dst_sel:DWORD dst_unused:UNUSED_PAD src0_sel:WORD_1 src1_sel:WORD_1
	v_sub_f16_e32 v100, v103, v28
	v_add_f16_e32 v28, v4, v6
	v_pk_add_f16 v21, v98, v21
	v_add_f16_e32 v54, v102, v26
	v_add_f16_e32 v96, v53, v45
	v_add_f16_e32 v98, v44, v22
	v_fmac_f16_e32 v51, 0xb8b4, v46
	v_add_f16_e32 v46, v48, v49
	v_add_f16_e32 v52, v47, v50
	;; [unrolled: 1-line block ×3, first 2 shown]
	v_sub_f16_e32 v26, v102, v26
	v_sub_f16_e32 v45, v53, v45
	;; [unrolled: 1-line block ×4, first 2 shown]
	v_fmamk_f16 v22, v94, 0x3b9c, v30
	v_sub_f16_sdwa v49, v8, v2 dst_sel:DWORD dst_unused:UNUSED_PAD src0_sel:WORD_1 src1_sel:WORD_1
	v_sub_f16_e32 v53, v6, v2
	v_sub_f16_e32 v101, v4, v8
	;; [unrolled: 1-line block ×3, first 2 shown]
	v_fma_f16 v28, -0.5, v28, v10
	v_sub_f16_e32 v50, v113, v93
	v_fmac_f16_e32 v30, 0xbb9c, v94
	v_sub_f16_e32 v93, v2, v6
	v_sub_f16_e32 v102, v8, v4
	v_add_f16_e32 v99, v56, v51
	v_fmac_f16_e32 v22, 0x38b4, v49
	v_add_f16_e32 v53, v101, v53
	v_fmamk_f16 v101, v49, 0xbb9c, v28
	v_sub_f16_e32 v51, v56, v51
	v_fmac_f16_e32 v30, 0xb8b4, v49
	v_add_f16_e32 v56, v102, v93
	v_fmac_f16_e32 v28, 0x3b9c, v49
	v_add_f16_sdwa v49, v8, v2 dst_sel:DWORD dst_unused:UNUSED_PAD src0_sel:WORD_1 src1_sel:WORD_1
	v_lshrrev_b32_e32 v102, 16, v10
	v_pk_add_f16 v10, v10, v4
	v_fmac_f16_e32 v22, 0x34f2, v53
	v_fmac_f16_e32 v101, 0x38b4, v94
	;; [unrolled: 1-line block ×4, first 2 shown]
	v_fma_f16 v49, -0.5, v49, v102
	v_sub_f16_e32 v53, v4, v6
	v_pk_add_f16 v10, v10, v8
	v_add_f16_sdwa v104, v4, v6 dst_sel:DWORD dst_unused:UNUSED_PAD src0_sel:WORD_1 src1_sel:WORD_1
	v_fmac_f16_e32 v101, 0x34f2, v56
	v_sub_f16_sdwa v93, v4, v8 dst_sel:DWORD dst_unused:UNUSED_PAD src0_sel:WORD_1 src1_sel:WORD_1
	v_sub_f16_sdwa v94, v6, v2 dst_sel:DWORD dst_unused:UNUSED_PAD src0_sel:WORD_1 src1_sel:WORD_1
	v_fmac_f16_e32 v28, 0x34f2, v56
	v_fmamk_f16 v56, v53, 0xbb9c, v49
	v_sub_f16_e32 v103, v8, v2
	v_pk_add_f16 v10, v10, v2
	v_fmac_f16_e32 v102, -0.5, v104
	v_pk_add_f16 v19, v0, v19
	v_fmac_f16_e32 v49, 0x3b9c, v53
	v_sub_f16_sdwa v0, v8, v4 dst_sel:DWORD dst_unused:UNUSED_PAD src0_sel:WORD_1 src1_sel:WORD_1
	v_add_f16_e32 v4, v18, v15
	v_sub_f16_sdwa v2, v2, v6 dst_sel:DWORD dst_unused:UNUSED_PAD src0_sel:WORD_1 src1_sel:WORD_1
	v_add_f16_e32 v94, v93, v94
	v_fmac_f16_e32 v56, 0xb8b4, v103
	v_pk_add_f16 v10, v10, v6
	v_fmac_f16_e32 v49, 0x38b4, v103
	v_fmamk_f16 v8, v103, 0x3b9c, v102
	v_fmac_f16_e32 v102, 0xbb9c, v103
	v_fma_f16 v4, -0.5, v4, v1
	v_sub_f16_sdwa v6, v20, v13 dst_sel:DWORD dst_unused:UNUSED_PAD src0_sel:WORD_1 src1_sel:WORD_1
	v_add_f16_e32 v2, v0, v2
	v_add_f16_e32 v0, v20, v13
	v_lshl_add_u32 v93, v34, 2, v31
	v_pk_add_f16 v7, v95, v7
	v_fmac_f16_e32 v56, 0x34f2, v94
	v_fmac_f16_e32 v49, 0x34f2, v94
	;; [unrolled: 1-line block ×4, first 2 shown]
	v_fmamk_f16 v34, v6, 0x3b9c, v4
	v_sub_f16_sdwa v53, v18, v15 dst_sel:DWORD dst_unused:UNUSED_PAD src0_sel:WORD_1 src1_sel:WORD_1
	v_sub_f16_e32 v94, v13, v15
	v_sub_f16_e32 v95, v20, v18
	v_fmac_f16_e32 v4, 0xbb9c, v6
	v_fma_f16 v103, -0.5, v0, v1
	v_fmac_f16_e32 v34, 0x38b4, v53
	v_sub_f16_e32 v0, v15, v13
	v_add_f16_e32 v94, v95, v94
	v_fmac_f16_e32 v4, 0xb8b4, v53
	v_fmamk_f16 v95, v53, 0xbb9c, v103
	v_fmac_f16_e32 v103, 0x3b9c, v53
	v_sub_f16_e32 v104, v18, v20
	v_pk_add_f16 v17, v19, v17
	v_fmac_f16_e32 v8, 0x34f2, v2
	v_fmac_f16_e32 v95, 0x38b4, v6
	v_fmac_f16_e32 v103, 0xb8b4, v6
	v_fmac_f16_e32 v102, 0x34f2, v2
	v_fmac_f16_e32 v34, 0x34f2, v94
	v_fmac_f16_e32 v4, 0x34f2, v94
	v_pk_add_f16 v2, v1, v20
	v_add_f16_sdwa v6, v18, v15 dst_sel:DWORD dst_unused:UNUSED_PAD src0_sel:WORD_1 src1_sel:WORD_1
	v_lshrrev_b32_e32 v1, 16, v1
	v_add_f16_sdwa v94, v20, v13 dst_sel:DWORD dst_unused:UNUSED_PAD src0_sel:WORD_1 src1_sel:WORD_1
	v_add_f16_e32 v104, v104, v0
	v_pk_add_f16 v2, v2, v18
	v_pk_add_f16 v14, v17, v14
	v_fma_f16 v6, -0.5, v6, v1
	v_sub_f16_e32 v17, v18, v15
	v_fmac_f16_e32 v1, -0.5, v94
	v_sub_f16_e32 v19, v20, v13
	v_fmac_f16_e32 v95, 0x34f2, v104
	v_fmac_f16_e32 v103, 0x34f2, v104
	v_sub_f16_sdwa v53, v20, v18 dst_sel:DWORD dst_unused:UNUSED_PAD src0_sel:WORD_1 src1_sel:WORD_1
	v_sub_f16_sdwa v20, v18, v20 dst_sel:DWORD dst_unused:UNUSED_PAD src0_sel:WORD_1 src1_sel:WORD_1
	v_mul_u32_u24_e32 v104, 10, v32
	v_pk_add_f16 v18, v2, v15
	v_sub_f16_sdwa v2, v13, v15 dst_sel:DWORD dst_unused:UNUSED_PAD src0_sel:WORD_1 src1_sel:WORD_1
	v_sub_f16_sdwa v15, v15, v13 dst_sel:DWORD dst_unused:UNUSED_PAD src0_sel:WORD_1 src1_sel:WORD_1
	v_fmamk_f16 v106, v17, 0x3b9c, v1
	v_fmac_f16_e32 v1, 0xbb9c, v17
	v_fmamk_f16 v105, v19, 0xbb9c, v6
	v_fmac_f16_e32 v6, 0x3b9c, v19
	v_lshl_add_u32 v94, v104, 2, v31
	v_pk_add_f16 v104, v14, v12
	v_fmac_f16_e32 v106, 0xb8b4, v19
	v_add_f16_e32 v12, v20, v15
	v_fmac_f16_e32 v1, 0x38b4, v19
	v_fmac_f16_e32 v105, 0xb8b4, v17
	v_add_f16_e32 v14, v53, v2
	v_fmac_f16_e32 v6, 0x38b4, v17
	v_fmac_f16_e32 v106, 0x34f2, v12
	v_pk_add_f16 v18, v18, v13
	v_fmac_f16_e32 v1, 0x34f2, v12
	v_mul_f16_e32 v13, 0xb4f2, v103
	v_fmac_f16_e32 v105, 0x34f2, v14
	v_fmac_f16_e32 v6, 0x34f2, v14
	v_mul_f16_e32 v14, 0xba79, v4
	v_mul_f16_e32 v15, 0x3a79, v34
	;; [unrolled: 1-line block ×4, first 2 shown]
	v_fmac_f16_e32 v13, 0x3b9c, v1
	v_mul_f16_e32 v34, 0xbb9c, v95
	v_mul_f16_e32 v1, 0xb4f2, v1
	v_fmac_f16_e32 v14, 0x38b4, v6
	v_mul_f16_e32 v6, 0xba79, v6
	v_fmac_f16_e32 v15, 0x38b4, v105
	v_fmac_f16_e32 v17, 0x34f2, v95
	;; [unrolled: 1-line block ×6, first 2 shown]
	v_pk_add_f16 v0, v7, v21
	v_pk_add_f16 v7, v7, v21 neg_lo:[0,1] neg_hi:[0,1]
	v_add_f16_e32 v19, v22, v15
	v_add_f16_e32 v21, v101, v17
	;; [unrolled: 1-line block ×3, first 2 shown]
	v_sub_f16_e32 v4, v22, v15
	v_add_f16_e32 v15, v56, v20
	v_sub_f16_e32 v17, v101, v17
	v_add_f16_e32 v22, v8, v34
	v_add_f16_e32 v101, v102, v1
	v_add_f16_e32 v95, v30, v14
	v_add_f16_e32 v103, v49, v6
	v_sub_f16_e32 v20, v56, v20
	v_sub_f16_e32 v8, v8, v34
	;; [unrolled: 1-line block ×6, first 2 shown]
	v_pk_add_f16 v12, v10, v18
	v_pack_b32_f16 v13, v19, v15
	v_pack_b32_f16 v15, v53, v101
	;; [unrolled: 1-line block ×3, first 2 shown]
	v_pk_add_f16 v18, v10, v18 neg_lo:[0,1] neg_hi:[0,1]
	v_pack_b32_f16 v19, v4, v20
	v_pack_b32_f16 v20, v17, v8
	;; [unrolled: 1-line block ×11, first 2 shown]
	ds_write2_b64 v92, v[12:13], v[14:15] offset1:1
	ds_write2_b64 v92, v[17:18], v[19:20] offset0:2 offset1:3
	ds_write_b64 v92, v[21:22] offset:32
	ds_write2_b64 v93, v[0:1], v[27:28] offset1:1
	ds_write2_b64 v93, v[6:7], v[29:30] offset0:2 offset1:3
	v_pack_b32_f16 v1, v5, v23
	v_pack_b32_f16 v0, v3, v11
	v_add_co_u32 v25, null, v87, 20
	v_pk_add_f16 v2, v104, v24
	v_pack_b32_f16 v3, v54, v46
	v_pack_b32_f16 v5, v96, v97
	;; [unrolled: 1-line block ×3, first 2 shown]
	v_pk_add_f16 v7, v104, v24 neg_lo:[0,1] neg_hi:[0,1]
	v_pack_b32_f16 v8, v26, v48
	v_pack_b32_f16 v9, v100, v47
	;; [unrolled: 1-line block ×3, first 2 shown]
	ds_write_b64 v93, v[0:1] offset:32
	ds_write2_b64 v94, v[2:3], v[4:5] offset1:1
	ds_write2_b64 v94, v[6:7], v[8:9] offset0:2 offset1:3
	v_and_b32_e32 v8, 0xff, v25
	v_add_co_u32 v26, null, v87, 25
	v_pack_b32_f16 v11, v44, v51
	v_pack_b32_f16 v10, v45, v50
	v_mul_lo_u16 v8, 0xcd, v8
	v_and_b32_e32 v9, 0xff, v26
	v_lshlrev_b32_e32 v0, 4, v87
	ds_write_b64 v94, v[10:11] offset:32
	v_lshrrev_b16 v8, 11, v8
	v_mul_lo_u16 v9, 0xcd, v9
	s_waitcnt lgkmcnt(0)
	s_barrier
	buffer_gl0_inv
	v_mul_lo_u16 v8, v8, 10
	v_lshrrev_b16 v9, 11, v9
	global_load_dwordx4 v[4:7], v0, s[2:3]
	v_sub_nc_u16 v21, v25, v8
	v_mul_lo_u16 v8, v9, 10
	v_lshlrev_b32_e32 v25, 3, v25
	v_lshlrev_b16 v9, 2, v21
	v_sub_nc_u16 v22, v26, v8
	v_and_b32_e32 v21, 0xff, v21
	v_lshlrev_b32_e32 v26, 3, v26
	v_and_b32_e32 v8, 0xfc, v9
	v_lshlrev_b16 v9, 2, v22
	v_lshlrev_b32_e32 v8, 2, v8
	v_and_b32_e32 v9, 0xfc, v9
	global_load_dwordx4 v[12:15], v8, s[2:3]
	v_lshlrev_b32_e32 v0, 4, v33
	v_lshlrev_b32_e32 v8, 2, v9
	s_clause 0x1
	global_load_dwordx4 v[0:3], v0, s[2:3]
	global_load_dwordx4 v[8:11], v8, s[2:3]
	ds_read2_b32 v[29:30], v71 offset1:5
	ds_read2_b32 v[23:24], v71 offset0:30 offset1:35
	ds_read2_b32 v[27:28], v71 offset0:60 offset1:65
	;; [unrolled: 1-line block ×13, first 2 shown]
	s_waitcnt lgkmcnt(13)
	v_lshrrev_b32_e32 v36, 16, v29
	s_waitcnt lgkmcnt(12)
	v_lshrrev_b32_e32 v54, 16, v23
	;; [unrolled: 2-line block ×4, first 2 shown]
	v_lshrrev_b32_e32 v97, 16, v24
	s_waitcnt lgkmcnt(9)
	v_lshrrev_b32_e32 v95, 16, v38
	v_lshrrev_b32_e32 v99, 16, v35
	;; [unrolled: 1-line block ×5, first 2 shown]
	s_waitcnt vmcnt(3)
	v_mul_f16_sdwa v101, v54, v4 dst_sel:DWORD dst_unused:UNUSED_PAD src0_sel:DWORD src1_sel:WORD_1
	v_mul_f16_sdwa v102, v23, v4 dst_sel:DWORD dst_unused:UNUSED_PAD src0_sel:DWORD src1_sel:WORD_1
	v_mul_f16_sdwa v103, v55, v5 dst_sel:DWORD dst_unused:UNUSED_PAD src0_sel:DWORD src1_sel:WORD_1
	v_mul_f16_sdwa v104, v27, v5 dst_sel:DWORD dst_unused:UNUSED_PAD src0_sel:DWORD src1_sel:WORD_1
	v_mul_f16_sdwa v105, v38, v7 dst_sel:DWORD dst_unused:UNUSED_PAD src0_sel:DWORD src1_sel:WORD_1
	v_fma_f16 v101, v23, v4, -v101
	v_fmac_f16_e32 v102, v54, v4
	v_mul_f16_sdwa v23, v56, v6 dst_sel:DWORD dst_unused:UNUSED_PAD src0_sel:DWORD src1_sel:WORD_1
	v_fma_f16 v54, v27, v5, -v103
	v_mul_f16_sdwa v103, v34, v6 dst_sel:DWORD dst_unused:UNUSED_PAD src0_sel:DWORD src1_sel:WORD_1
	v_fmac_f16_e32 v104, v55, v5
	v_mul_f16_sdwa v27, v95, v7 dst_sel:DWORD dst_unused:UNUSED_PAD src0_sel:DWORD src1_sel:WORD_1
	v_fma_f16 v55, v34, v6, -v23
	v_fmac_f16_e32 v105, v95, v7
	v_fmac_f16_e32 v103, v56, v6
	v_sub_f16_e32 v109, v102, v104
	v_fma_f16 v38, v38, v7, -v27
	v_sub_f16_e32 v118, v54, v55
	v_sub_f16_e32 v111, v102, v105
	;; [unrolled: 1-line block ×6, first 2 shown]
	s_waitcnt vmcnt(1)
	v_mul_f16_sdwa v23, v97, v0 dst_sel:DWORD dst_unused:UNUSED_PAD src0_sel:DWORD src1_sel:WORD_1
	v_mul_f16_sdwa v56, v24, v0 dst_sel:DWORD dst_unused:UNUSED_PAD src0_sel:DWORD src1_sel:WORD_1
	;; [unrolled: 1-line block ×4, first 2 shown]
	v_fma_f16 v95, v24, v0, -v23
	v_fmac_f16_e32 v56, v97, v0
	v_mul_f16_sdwa v97, v28, v1 dst_sel:DWORD dst_unused:UNUSED_PAD src0_sel:DWORD src1_sel:WORD_1
	v_mul_f16_sdwa v23, v99, v2 dst_sel:DWORD dst_unused:UNUSED_PAD src0_sel:DWORD src1_sel:WORD_1
	v_add_f16_e32 v24, v29, v101
	v_fma_f16 v106, v28, v1, -v27
	v_fmac_f16_e32 v107, v99, v2
	v_fmac_f16_e32 v97, v98, v1
	v_fma_f16 v98, v35, v2, -v23
	v_mul_f16_sdwa v23, v100, v3 dst_sel:DWORD dst_unused:UNUSED_PAD src0_sel:DWORD src1_sel:WORD_1
	v_add_f16_e32 v24, v24, v54
	v_mul_f16_sdwa v99, v39, v3 dst_sel:DWORD dst_unused:UNUSED_PAD src0_sel:DWORD src1_sel:WORD_1
	v_add_f16_e32 v27, v36, v102
	v_add_f16_e32 v28, v96, v56
	v_fma_f16 v39, v39, v3, -v23
	v_add_f16_e32 v23, v24, v55
	v_add_f16_e32 v24, v30, v95
	;; [unrolled: 1-line block ×4, first 2 shown]
	v_fmac_f16_e32 v99, v100, v3
	v_add_f16_e32 v23, v23, v38
	v_add_f16_e32 v24, v24, v106
	;; [unrolled: 1-line block ×4, first 2 shown]
	v_sub_f16_e32 v100, v101, v54
	v_add_f16_e32 v115, v106, v98
	v_add_f16_e32 v24, v24, v98
	v_add_f16_e32 v27, v27, v105
	v_add_f16_e32 v28, v28, v99
	v_add_f16_e32 v100, v100, v108
	v_add_f16_e32 v108, v109, v110
	v_add_f16_e32 v24, v24, v39
	v_pack_b32_f16 v109, v23, v27
	v_add_f16_e32 v23, v54, v55
	v_sub_f16_e32 v27, v95, v106
	v_add_f16_e32 v117, v97, v107
	v_pack_b32_f16 v110, v24, v28
	v_sub_f16_e32 v28, v39, v98
	v_sub_f16_e32 v54, v54, v101
	;; [unrolled: 1-line block ×3, first 2 shown]
	v_add_f16_e32 v38, v101, v38
	ds_read2_b32 v[34:35], v71 offset0:140 offset1:145
	s_waitcnt vmcnt(0) lgkmcnt(0)
	v_add_f16_e32 v24, v104, v103
	s_barrier
	buffer_gl0_inv
	v_fma_f16 v23, -0.5, v23, v29
	v_add_f16_e32 v119, v27, v28
	v_fma_f16 v27, -0.5, v115, v30
	v_sub_f16_e32 v115, v56, v99
	v_fma_f16 v28, -0.5, v117, v96
	v_sub_f16_e32 v117, v95, v39
	v_sub_f16_e32 v120, v56, v97
	ds_write2_b32 v71, v109, v110 offset1:5
	v_add_f16_e32 v109, v102, v105
	v_add_f16_e32 v54, v54, v55
	v_sub_f16_e32 v55, v104, v102
	v_sub_f16_e32 v102, v106, v95
	v_add_f16_e32 v95, v95, v39
	v_fma_f16 v29, -0.5, v38, v29
	v_sub_f16_e32 v38, v97, v56
	v_add_f16_e32 v56, v56, v99
	v_fma_f16 v24, -0.5, v24, v36
	v_sub_f16_e32 v123, v97, v107
	v_sub_f16_e32 v125, v106, v98
	v_fmac_f16_e32 v36, -0.5, v109
	v_fmac_f16_e32 v30, -0.5, v95
	v_fmac_f16_e32 v96, -0.5, v56
	v_sub_f16_e32 v121, v99, v107
	v_sub_f16_e32 v101, v103, v105
	;; [unrolled: 1-line block ×4, first 2 shown]
	v_fmamk_f16 v98, v114, 0xbb9c, v29
	v_fmamk_f16 v56, v118, 0x3b9c, v36
	;; [unrolled: 1-line block ×4, first 2 shown]
	v_add_f16_e32 v55, v55, v101
	v_add_f16_e32 v39, v102, v39
	v_fmac_f16_e32 v98, 0x38b4, v111
	v_fmac_f16_e32 v56, 0xb8b4, v112
	v_add_f16_e32 v38, v38, v97
	v_fmac_f16_e32 v95, 0x38b4, v115
	v_fmac_f16_e32 v99, 0xb8b4, v117
	;; [unrolled: 1-line block ×10, first 2 shown]
	v_pack_b32_f16 v56, v98, v56
	v_lshrrev_b32_e32 v97, 16, v40
	v_pack_b32_f16 v95, v95, v99
	v_fmac_f16_e32 v30, 0x34f2, v39
	v_fmac_f16_e32 v96, 0x34f2, v38
	v_mul_f16_sdwa v38, v40, v4 dst_sel:DWORD dst_unused:UNUSED_PAD src0_sel:DWORD src1_sel:WORD_1
	v_mul_f16_sdwa v98, v97, v4 dst_sel:DWORD dst_unused:UNUSED_PAD src0_sel:DWORD src1_sel:WORD_1
	ds_write2_b32 v71, v56, v95 offset0:20 offset1:25
	v_lshrrev_b32_e32 v95, 16, v42
	v_pack_b32_f16 v30, v30, v96
	v_fmac_f16_e32 v38, v97, v4
	v_lshrrev_b32_e32 v96, 16, v43
	v_mul_f16_sdwa v97, v42, v5 dst_sel:DWORD dst_unused:UNUSED_PAD src0_sel:DWORD src1_sel:WORD_1
	v_lshrrev_b32_e32 v39, 16, v41
	v_fma_f16 v40, v40, v4, -v98
	v_mul_f16_sdwa v98, v95, v5 dst_sel:DWORD dst_unused:UNUSED_PAD src0_sel:DWORD src1_sel:WORD_1
	v_mul_f16_sdwa v99, v96, v1 dst_sel:DWORD dst_unused:UNUSED_PAD src0_sel:DWORD src1_sel:WORD_1
	v_fmac_f16_e32 v97, v95, v5
	v_lshrrev_b32_e32 v95, 16, v44
	v_mul_f16_sdwa v56, v39, v0 dst_sel:DWORD dst_unused:UNUSED_PAD src0_sel:DWORD src1_sel:WORD_1
	v_fma_f16 v42, v42, v5, -v98
	v_fma_f16 v98, v43, v1, -v99
	v_mul_f16_sdwa v99, v44, v6 dst_sel:DWORD dst_unused:UNUSED_PAD src0_sel:DWORD src1_sel:WORD_1
	v_mul_f16_sdwa v102, v95, v6 dst_sel:DWORD dst_unused:UNUSED_PAD src0_sel:DWORD src1_sel:WORD_1
	v_lshrrev_b32_e32 v104, 16, v46
	v_lshrrev_b32_e32 v105, 16, v47
	v_fma_f16 v56, v41, v0, -v56
	v_mul_f16_sdwa v41, v41, v0 dst_sel:DWORD dst_unused:UNUSED_PAD src0_sel:DWORD src1_sel:WORD_1
	v_mul_f16_sdwa v43, v43, v1 dst_sel:DWORD dst_unused:UNUSED_PAD src0_sel:DWORD src1_sel:WORD_1
	v_fmac_f16_e32 v99, v95, v6
	v_fma_f16 v44, v44, v6, -v102
	v_mul_f16_sdwa v95, v104, v7 dst_sel:DWORD dst_unused:UNUSED_PAD src0_sel:DWORD src1_sel:WORD_1
	v_mul_f16_sdwa v102, v105, v3 dst_sel:DWORD dst_unused:UNUSED_PAD src0_sel:DWORD src1_sel:WORD_1
	v_lshrrev_b32_e32 v101, 16, v45
	v_mul_f16_sdwa v106, v46, v7 dst_sel:DWORD dst_unused:UNUSED_PAD src0_sel:DWORD src1_sel:WORD_1
	v_fmac_f16_e32 v41, v39, v0
	v_fma_f16 v46, v46, v7, -v95
	v_fma_f16 v95, v47, v3, -v102
	v_mul_f16_sdwa v47, v47, v3 dst_sel:DWORD dst_unused:UNUSED_PAD src0_sel:DWORD src1_sel:WORD_1
	v_fmac_f16_e32 v43, v96, v1
	v_lshrrev_b32_e32 v39, 16, v48
	v_mul_f16_sdwa v96, v48, v12 dst_sel:DWORD dst_unused:UNUSED_PAD src0_sel:DWORD src1_sel:WORD_1
	v_fmamk_f16 v113, v111, 0x3b9c, v23
	v_fmamk_f16 v116, v112, 0xbb9c, v24
	;; [unrolled: 1-line block ×4, first 2 shown]
	v_mul_f16_sdwa v103, v101, v2 dst_sel:DWORD dst_unused:UNUSED_PAD src0_sel:DWORD src1_sel:WORD_1
	v_fmac_f16_e32 v47, v105, v3
	v_mul_f16_sdwa v102, v39, v12 dst_sel:DWORD dst_unused:UNUSED_PAD src0_sel:DWORD src1_sel:WORD_1
	v_fmac_f16_e32 v96, v39, v12
	v_lshrrev_b32_e32 v39, 16, v50
	v_lshrrev_b32_e32 v105, 16, v51
	v_fmac_f16_e32 v29, 0x3b9c, v114
	v_fmac_f16_e32 v36, 0xbb9c, v118
	;; [unrolled: 1-line block ×4, first 2 shown]
	v_add_f16_e32 v120, v120, v121
	v_fmac_f16_e32 v122, 0x38b4, v123
	v_fmac_f16_e32 v124, 0xb8b4, v125
	v_fma_f16 v103, v45, v2, -v103
	v_mul_f16_sdwa v45, v45, v2 dst_sel:DWORD dst_unused:UNUSED_PAD src0_sel:DWORD src1_sel:WORD_1
	v_fma_f16 v48, v48, v12, -v102
	v_mul_f16_sdwa v102, v50, v13 dst_sel:DWORD dst_unused:UNUSED_PAD src0_sel:DWORD src1_sel:WORD_1
	v_mul_f16_sdwa v107, v39, v13 dst_sel:DWORD dst_unused:UNUSED_PAD src0_sel:DWORD src1_sel:WORD_1
	;; [unrolled: 1-line block ×3, first 2 shown]
	v_fmac_f16_e32 v23, 0xbb9c, v111
	v_fmac_f16_e32 v29, 0xb8b4, v111
	v_fmac_f16_e32 v36, 0x38b4, v112
	v_fmac_f16_e32 v113, 0x34f2, v100
	v_fmac_f16_e32 v116, 0x34f2, v108
	v_fmac_f16_e32 v122, 0x34f2, v119
	v_fmac_f16_e32 v124, 0x34f2, v120
	v_fmac_f16_e32 v45, v101, v2
	v_lshrrev_b32_e32 v101, 16, v49
	v_fmac_f16_e32 v102, v39, v13
	v_fma_f16 v39, v50, v13, -v107
	v_fma_f16 v107, v51, v9, -v109
	v_mul_f16_sdwa v51, v51, v9 dst_sel:DWORD dst_unused:UNUSED_PAD src0_sel:DWORD src1_sel:WORD_1
	v_lshrrev_b32_e32 v109, 16, v53
	v_fmac_f16_e32 v24, 0x3b9c, v112
	v_fmac_f16_e32 v23, 0xb8b4, v114
	;; [unrolled: 1-line block ×4, first 2 shown]
	v_pack_b32_f16 v110, v113, v116
	v_pack_b32_f16 v113, v122, v124
	v_fmac_f16_e32 v106, v104, v7
	v_mul_f16_sdwa v104, v101, v8 dst_sel:DWORD dst_unused:UNUSED_PAD src0_sel:DWORD src1_sel:WORD_1
	v_mul_f16_sdwa v122, v109, v10 dst_sel:DWORD dst_unused:UNUSED_PAD src0_sel:DWORD src1_sel:WORD_1
	v_fmac_f16_e32 v51, v105, v9
	v_fmac_f16_e32 v24, 0x38b4, v118
	v_add_f16_e32 v54, v42, v44
	v_fmac_f16_e32 v23, 0x34f2, v100
	v_pack_b32_f16 v29, v29, v36
	v_sub_f16_e32 v55, v40, v42
	v_sub_f16_e32 v100, v46, v44
	v_add_f16_e32 v105, v40, v46
	v_fma_f16 v104, v49, v8, -v104
	v_mul_f16_sdwa v49, v49, v8 dst_sel:DWORD dst_unused:UNUSED_PAD src0_sel:DWORD src1_sel:WORD_1
	v_fma_f16 v122, v53, v10, -v122
	v_mul_f16_sdwa v53, v53, v10 dst_sel:DWORD dst_unused:UNUSED_PAD src0_sel:DWORD src1_sel:WORD_1
	v_fmac_f16_e32 v24, 0x34f2, v108
	v_fma_f16 v36, -0.5, v54, v19
	v_sub_f16_e32 v54, v38, v106
	v_sub_f16_e32 v108, v97, v99
	ds_write2_b32 v71, v29, v30 offset0:30 offset1:35
	v_add_f16_e32 v29, v55, v100
	v_fma_f16 v30, -0.5, v105, v19
	v_sub_f16_e32 v55, v42, v40
	v_sub_f16_e32 v100, v44, v46
	v_add_f16_e32 v105, v19, v40
	v_fmac_f16_e32 v49, v101, v8
	v_fmac_f16_e32 v53, v109, v10
	v_fmamk_f16 v101, v54, 0x3b9c, v36
	v_fmac_f16_e32 v36, 0xbb9c, v54
	v_fmamk_f16 v109, v108, 0xbb9c, v30
	v_fmac_f16_e32 v30, 0x3b9c, v108
	v_add_f16_e32 v55, v55, v100
	v_add_f16_e32 v100, v105, v42
	v_fmac_f16_e32 v101, 0x38b4, v108
	v_fmac_f16_e32 v36, 0xb8b4, v108
	;; [unrolled: 1-line block ×4, first 2 shown]
	v_add_f16_e32 v54, v100, v44
	v_lshrrev_b32_e32 v19, 16, v19
	v_fmac_f16_e32 v101, 0x34f2, v29
	v_fmac_f16_e32 v36, 0x34f2, v29
	;; [unrolled: 1-line block ×4, first 2 shown]
	v_add_f16_e32 v29, v54, v46
	v_add_f16_e32 v54, v19, v38
	;; [unrolled: 1-line block ×3, first 2 shown]
	v_sub_f16_e32 v40, v40, v46
	v_sub_f16_e32 v46, v38, v97
	;; [unrolled: 1-line block ×3, first 2 shown]
	v_add_f16_e32 v54, v54, v97
	v_fma_f16 v55, -0.5, v55, v19
	v_sub_f16_e32 v42, v42, v44
	v_add_f16_e32 v44, v38, v106
	v_add_f16_e32 v46, v46, v100
	;; [unrolled: 1-line block ×3, first 2 shown]
	v_fmamk_f16 v100, v40, 0xbb9c, v55
	v_fmac_f16_e32 v55, 0x3b9c, v40
	v_fmac_f16_e32 v19, -0.5, v44
	v_sub_f16_e32 v38, v97, v38
	v_add_f16_e32 v44, v54, v106
	v_fmac_f16_e32 v100, 0xb8b4, v42
	v_fmac_f16_e32 v55, 0x38b4, v42
	v_sub_f16_e32 v54, v99, v106
	v_fmamk_f16 v97, v42, 0x3b9c, v19
	v_fmac_f16_e32 v19, 0xbb9c, v42
	v_fmac_f16_e32 v100, 0x34f2, v46
	;; [unrolled: 1-line block ×3, first 2 shown]
	v_add_f16_e32 v38, v38, v54
	v_sub_f16_e32 v46, v56, v98
	v_sub_f16_e32 v54, v95, v103
	v_add_f16_e32 v42, v98, v103
	v_fmac_f16_e32 v97, 0xb8b4, v40
	v_fmac_f16_e32 v19, 0x38b4, v40
	v_lshrrev_b32_e32 v99, 16, v20
	v_add_f16_e32 v46, v46, v54
	v_add_f16_e32 v54, v56, v95
	v_fma_f16 v40, -0.5, v42, v20
	v_add_f16_e32 v105, v20, v56
	v_sub_f16_e32 v108, v43, v45
	v_sub_f16_e32 v42, v41, v47
	v_fmac_f16_e32 v20, -0.5, v54
	v_sub_f16_e32 v54, v98, v56
	v_sub_f16_e32 v111, v103, v95
	v_add_f16_e32 v105, v105, v98
	v_fmamk_f16 v106, v42, 0x3b9c, v40
	v_fmamk_f16 v112, v108, 0xbb9c, v20
	v_fmac_f16_e32 v20, 0x3b9c, v108
	v_fmac_f16_e32 v40, 0xbb9c, v42
	v_add_f16_e32 v54, v54, v111
	v_lshrrev_b32_e32 v50, 16, v52
	v_fmac_f16_e32 v112, 0x38b4, v42
	v_fmac_f16_e32 v20, 0xb8b4, v42
	;; [unrolled: 1-line block ×6, first 2 shown]
	v_add_f16_e32 v38, v105, v103
	v_fmac_f16_e32 v112, 0x34f2, v54
	v_fmac_f16_e32 v20, 0x34f2, v54
	v_add_f16_e32 v54, v43, v45
	ds_write2_b32 v71, v110, v113 offset0:10 offset1:15
	v_mul_f16_sdwa v110, v52, v14 dst_sel:DWORD dst_unused:UNUSED_PAD src0_sel:DWORD src1_sel:WORD_1
	v_mul_f16_sdwa v113, v50, v14 dst_sel:DWORD dst_unused:UNUSED_PAD src0_sel:DWORD src1_sel:WORD_1
	v_lshrrev_b32_e32 v116, 16, v34
	v_fmac_f16_e32 v106, 0x34f2, v46
	v_fmac_f16_e32 v40, 0x34f2, v46
	v_add_f16_e32 v38, v38, v95
	v_sub_f16_e32 v46, v56, v95
	v_sub_f16_e32 v56, v41, v43
	;; [unrolled: 1-line block ×3, first 2 shown]
	v_fma_f16 v54, -0.5, v54, v99
	v_fmac_f16_e32 v110, v50, v14
	v_fma_f16 v50, v52, v14, -v113
	v_mul_f16_sdwa v52, v116, v15 dst_sel:DWORD dst_unused:UNUSED_PAD src0_sel:DWORD src1_sel:WORD_1
	v_add_f16_e32 v42, v99, v41
	v_add_f16_e32 v105, v41, v47
	v_sub_f16_e32 v98, v98, v103
	v_add_f16_e32 v56, v56, v95
	v_fmamk_f16 v95, v46, 0xbb9c, v54
	v_fmac_f16_e32 v54, 0x3b9c, v46
	v_lshrrev_b32_e32 v121, 16, v35
	v_mul_f16_sdwa v124, v34, v15 dst_sel:DWORD dst_unused:UNUSED_PAD src0_sel:DWORD src1_sel:WORD_1
	v_fma_f16 v34, v34, v15, -v52
	v_add_f16_e32 v42, v42, v43
	v_fmac_f16_e32 v99, -0.5, v105
	v_fmac_f16_e32 v95, 0xb8b4, v98
	v_fmac_f16_e32 v54, 0x38b4, v98
	v_mul_f16_sdwa v113, v121, v11 dst_sel:DWORD dst_unused:UNUSED_PAD src0_sel:DWORD src1_sel:WORD_1
	v_add_f16_e32 v42, v42, v45
	v_sub_f16_e32 v41, v43, v41
	v_sub_f16_e32 v43, v45, v47
	v_fmamk_f16 v45, v98, 0x3b9c, v99
	v_fmac_f16_e32 v99, 0xbb9c, v98
	v_fmac_f16_e32 v95, 0x34f2, v56
	;; [unrolled: 1-line block ×3, first 2 shown]
	v_sub_f16_e32 v56, v48, v39
	v_add_f16_e32 v98, v48, v34
	v_sub_f16_e32 v103, v34, v50
	v_fma_f16 v52, v35, v11, -v113
	v_fmac_f16_e32 v124, v116, v15
	v_add_f16_e32 v42, v42, v47
	v_add_f16_e32 v47, v39, v50
	v_fmac_f16_e32 v45, 0xb8b4, v46
	v_sub_f16_e32 v108, v102, v110
	v_fma_f16 v98, -0.5, v98, v17
	v_fmac_f16_e32 v99, 0x38b4, v46
	v_add_f16_e32 v46, v56, v103
	v_sub_f16_e32 v56, v39, v48
	v_sub_f16_e32 v103, v50, v34
	v_add_f16_e32 v113, v17, v48
	v_add_f16_e32 v41, v41, v43
	v_fma_f16 v43, -0.5, v47, v17
	v_sub_f16_e32 v47, v96, v124
	v_fmamk_f16 v111, v108, 0xbb9c, v98
	v_fmac_f16_e32 v98, 0x3b9c, v108
	v_add_f16_e32 v56, v56, v103
	v_add_f16_e32 v103, v113, v39
	v_fmamk_f16 v105, v47, 0x3b9c, v43
	v_fmac_f16_e32 v43, 0xbb9c, v47
	v_fmac_f16_e32 v111, 0x38b4, v47
	;; [unrolled: 1-line block ×5, first 2 shown]
	v_add_f16_e32 v41, v103, v50
	v_lshrrev_b32_e32 v17, 16, v17
	v_add_f16_e32 v47, v102, v110
	v_fmac_f16_e32 v27, 0xbb9c, v115
	v_fmac_f16_e32 v28, 0x3b9c, v117
	v_add_f16_e32 v41, v41, v34
	v_sub_f16_e32 v34, v48, v34
	v_fma_f16 v47, -0.5, v47, v17
	v_fmac_f16_e32 v27, 0xb8b4, v123
	v_fmac_f16_e32 v28, 0x38b4, v125
	;; [unrolled: 1-line block ×6, first 2 shown]
	v_sub_f16_e32 v48, v96, v102
	v_sub_f16_e32 v56, v124, v110
	v_add_f16_e32 v103, v96, v124
	v_sub_f16_e32 v39, v39, v50
	v_fmamk_f16 v50, v34, 0xbb9c, v47
	v_fmac_f16_e32 v47, 0x3b9c, v34
	v_mul_f16_sdwa v35, v35, v11 dst_sel:DWORD dst_unused:UNUSED_PAD src0_sel:DWORD src1_sel:WORD_1
	v_fmac_f16_e32 v27, 0x34f2, v119
	v_fmac_f16_e32 v28, 0x34f2, v120
	;; [unrolled: 1-line block ×4, first 2 shown]
	v_add_f16_e32 v46, v17, v96
	v_add_f16_e32 v48, v48, v56
	v_fmac_f16_e32 v17, -0.5, v103
	v_fmac_f16_e32 v50, 0xb8b4, v39
	v_fmac_f16_e32 v47, 0x38b4, v39
	v_fmac_f16_e32 v35, v121, v11
	v_add_f16_e32 v46, v46, v102
	v_sub_f16_e32 v56, v102, v96
	v_fmamk_f16 v102, v39, 0x3b9c, v17
	v_fmac_f16_e32 v17, 0xbb9c, v39
	v_pack_b32_f16 v23, v23, v24
	v_pack_b32_f16 v24, v27, v28
	v_fmac_f16_e32 v50, 0x34f2, v48
	v_fmac_f16_e32 v47, 0x34f2, v48
	v_sub_f16_e32 v28, v104, v107
	v_sub_f16_e32 v39, v52, v122
	v_add_f16_e32 v48, v107, v122
	v_sub_f16_e32 v96, v110, v124
	v_fmac_f16_e32 v102, 0xb8b4, v34
	v_fmac_f16_e32 v17, 0x38b4, v34
	ds_write2_b32 v71, v23, v24 offset0:40 offset1:45
	v_add_f16_e32 v23, v28, v39
	v_add_f16_e32 v24, v104, v52
	v_fma_f16 v28, -0.5, v48, v18
	v_sub_f16_e32 v34, v49, v35
	v_add_f16_e32 v27, v56, v96
	v_lshrrev_b32_e32 v39, 16, v18
	v_add_f16_e32 v48, v18, v104
	v_fmac_f16_e32 v18, -0.5, v24
	v_sub_f16_e32 v24, v51, v53
	v_fmamk_f16 v56, v34, 0x3b9c, v28
	v_fmac_f16_e32 v28, 0xbb9c, v34
	v_sub_f16_e32 v96, v107, v104
	v_sub_f16_e32 v103, v122, v52
	v_fmamk_f16 v108, v24, 0xbb9c, v18
	v_fmac_f16_e32 v56, 0x38b4, v24
	v_fmac_f16_e32 v28, 0xb8b4, v24
	v_fmac_f16_e32 v18, 0x3b9c, v24
	v_add_f16_e32 v48, v48, v107
	v_add_f16_e32 v24, v96, v103
	v_fmac_f16_e32 v56, 0x34f2, v23
	v_fmac_f16_e32 v28, 0x34f2, v23
	v_add_f16_e32 v23, v39, v49
	v_fmac_f16_e32 v108, 0x38b4, v34
	v_fmac_f16_e32 v18, 0xb8b4, v34
	;; [unrolled: 1-line block ×4, first 2 shown]
	v_add_f16_e32 v27, v48, v122
	v_add_f16_e32 v23, v23, v51
	v_add_f16_e32 v48, v51, v53
	v_add_f16_e32 v96, v49, v35
	v_fmac_f16_e32 v108, 0x34f2, v24
	v_fmac_f16_e32 v18, 0x34f2, v24
	v_add_f16_e32 v24, v27, v52
	v_sub_f16_e32 v27, v104, v52
	v_sub_f16_e32 v34, v49, v51
	;; [unrolled: 1-line block ×4, first 2 shown]
	v_add_f16_e32 v23, v23, v53
	v_fma_f16 v48, -0.5, v48, v39
	v_fmac_f16_e32 v39, -0.5, v96
	v_add_f16_e32 v34, v34, v52
	v_sub_f16_e32 v49, v51, v49
	v_add_f16_e32 v23, v23, v35
	v_sub_f16_e32 v35, v53, v35
	v_fmamk_f16 v52, v103, 0x3b9c, v39
	v_fmac_f16_e32 v39, 0xbb9c, v103
	v_add_f16_e32 v46, v46, v110
	v_fmamk_f16 v51, v27, 0xbb9c, v48
	v_add_f16_e32 v35, v49, v35
	v_fmac_f16_e32 v52, 0xb8b4, v27
	v_fmac_f16_e32 v39, 0x38b4, v27
	;; [unrolled: 1-line block ×3, first 2 shown]
	v_pack_b32_f16 v27, v29, v44
	v_pack_b32_f16 v29, v101, v100
	v_fmac_f16_e32 v52, 0x34f2, v35
	v_fmac_f16_e32 v39, 0x34f2, v35
	v_pack_b32_f16 v35, v38, v42
	v_pack_b32_f16 v42, v106, v95
	v_add_f16_e32 v46, v46, v124
	v_fmac_f16_e32 v51, 0xb8b4, v103
	v_pack_b32_f16 v38, v109, v97
	ds_write2_b32 v71, v27, v35 offset0:50 offset1:55
	v_pack_b32_f16 v27, v112, v45
	v_pack_b32_f16 v19, v30, v19
	;; [unrolled: 1-line block ×3, first 2 shown]
	v_fmac_f16_e32 v48, 0x38b4, v103
	v_pack_b32_f16 v30, v36, v55
	ds_write2_b32 v71, v29, v42 offset0:60 offset1:65
	v_pack_b32_f16 v29, v40, v54
	v_lshl_add_u32 v95, v21, 2, v31
	v_pack_b32_f16 v21, v41, v46
	v_pack_b32_f16 v35, v105, v50
	v_fmac_f16_e32 v51, 0x34f2, v34
	ds_write2_b32 v71, v38, v27 offset0:70 offset1:75
	ds_write2_b32 v71, v19, v20 offset0:80 offset1:85
	ds_write2_b32 v71, v30, v29 offset0:90 offset1:95
	v_and_b32_e32 v19, 0xff, v22
	v_fmac_f16_e32 v48, 0x34f2, v34
	v_pack_b32_f16 v20, v111, v102
	v_pack_b32_f16 v17, v98, v17
	ds_write2_b32 v95, v21, v35 offset0:100 offset1:110
	v_pack_b32_f16 v21, v43, v47
	v_lshl_add_u32 v96, v19, 2, v31
	v_pack_b32_f16 v19, v24, v23
	v_pack_b32_f16 v22, v56, v51
	;; [unrolled: 1-line block ×4, first 2 shown]
	v_lshlrev_b32_e32 v34, 3, v87
	v_pack_b32_f16 v24, v28, v48
	ds_write2_b32 v95, v20, v17 offset0:120 offset1:130
	ds_write_b32 v95, v21 offset:560
	ds_write2_b32 v96, v19, v22 offset0:100 offset1:110
	ds_write2_b32 v96, v23, v18 offset0:120 offset1:130
	ds_write_b32 v96, v24 offset:560
	v_lshlrev_b32_e32 v17, 3, v33
	s_waitcnt lgkmcnt(0)
	s_barrier
	buffer_gl0_inv
	s_clause 0x1
	global_load_dwordx2 v[23:24], v34, s[2:3] offset:160
	global_load_dwordx2 v[19:20], v17, s[2:3] offset:160
	v_lshlrev_b32_e32 v17, 3, v32
	v_add_nc_u32_e32 v18, 0x78, v34
	s_clause 0x3
	global_load_dwordx2 v[21:22], v17, s[2:3] offset:160
	global_load_dwordx2 v[17:18], v18, s[2:3] offset:160
	;; [unrolled: 1-line block ×4, first 2 shown]
	v_add_nc_u32_e32 v29, 0xf0, v34
	v_add_nc_u32_e32 v30, 0x118, v34
	s_clause 0x1
	global_load_dwordx2 v[31:32], v29, s[2:3] offset:160
	global_load_dwordx2 v[29:30], v30, s[2:3] offset:160
	v_lshlrev_b32_e32 v33, 3, v62
	v_add_nc_u32_e32 v34, 0x168, v34
	s_clause 0x1
	global_load_dwordx2 v[35:36], v33, s[2:3] offset:160
	global_load_dwordx2 v[33:34], v34, s[2:3] offset:160
	ds_read2_b32 v[38:39], v71 offset1:5
	ds_read2_b32 v[40:41], v71 offset0:50 offset1:55
	ds_read2_b32 v[42:43], v71 offset0:100 offset1:105
	ds_read2_b32 v[44:45], v71 offset0:10 offset1:15
	ds_read2_b32 v[46:47], v71 offset0:60 offset1:65
	ds_read2_b32 v[48:49], v71 offset0:110 offset1:115
	ds_read2_b32 v[50:51], v71 offset0:20 offset1:25
	ds_read2_b32 v[52:53], v71 offset0:70 offset1:75
	ds_read2_b32 v[54:55], v71 offset0:120 offset1:125
	ds_read2_b32 v[97:98], v71 offset0:30 offset1:35
	ds_read2_b32 v[99:100], v71 offset0:80 offset1:85
	ds_read2_b32 v[101:102], v71 offset0:130 offset1:135
	s_mov_b32 s2, 0xb4e81b4f
	s_mov_b32 s3, 0x3f7b4e81
	s_waitcnt lgkmcnt(11)
	v_lshrrev_b32_e32 v56, 16, v38
	s_waitcnt lgkmcnt(10)
	v_lshrrev_b32_e32 v103, 16, v40
	;; [unrolled: 2-line block ×3, first 2 shown]
	v_lshrrev_b32_e32 v106, 16, v41
	v_lshrrev_b32_e32 v107, 16, v43
	s_waitcnt lgkmcnt(7)
	v_lshrrev_b32_e32 v109, 16, v46
	v_lshrrev_b32_e32 v111, 16, v47
	;; [unrolled: 1-line block ×3, first 2 shown]
	s_waitcnt lgkmcnt(6)
	v_lshrrev_b32_e32 v110, 16, v48
	v_lshrrev_b32_e32 v108, 16, v44
	;; [unrolled: 1-line block ×3, first 2 shown]
	s_waitcnt vmcnt(9)
	v_mul_f16_sdwa v112, v103, v23 dst_sel:DWORD dst_unused:UNUSED_PAD src0_sel:DWORD src1_sel:WORD_1
	v_mul_f16_sdwa v113, v40, v23 dst_sel:DWORD dst_unused:UNUSED_PAD src0_sel:DWORD src1_sel:WORD_1
	s_waitcnt vmcnt(8)
	v_mul_f16_sdwa v114, v106, v19 dst_sel:DWORD dst_unused:UNUSED_PAD src0_sel:DWORD src1_sel:WORD_1
	v_fma_f16 v40, v40, v23, -v112
	v_mul_f16_sdwa v112, v104, v24 dst_sel:DWORD dst_unused:UNUSED_PAD src0_sel:DWORD src1_sel:WORD_1
	v_fmac_f16_e32 v113, v103, v23
	v_mul_f16_sdwa v103, v42, v24 dst_sel:DWORD dst_unused:UNUSED_PAD src0_sel:DWORD src1_sel:WORD_1
	v_fma_f16 v114, v41, v19, -v114
	v_mul_f16_sdwa v41, v41, v19 dst_sel:DWORD dst_unused:UNUSED_PAD src0_sel:DWORD src1_sel:WORD_1
	v_fma_f16 v42, v42, v24, -v112
	v_mul_f16_sdwa v112, v107, v20 dst_sel:DWORD dst_unused:UNUSED_PAD src0_sel:DWORD src1_sel:WORD_1
	v_fmac_f16_e32 v103, v104, v24
	v_mul_f16_sdwa v104, v43, v20 dst_sel:DWORD dst_unused:UNUSED_PAD src0_sel:DWORD src1_sel:WORD_1
	v_fmac_f16_e32 v41, v106, v19
	s_waitcnt vmcnt(7)
	v_mul_f16_sdwa v106, v109, v21 dst_sel:DWORD dst_unused:UNUSED_PAD src0_sel:DWORD src1_sel:WORD_1
	v_fma_f16 v43, v43, v20, -v112
	v_mul_f16_sdwa v112, v46, v21 dst_sel:DWORD dst_unused:UNUSED_PAD src0_sel:DWORD src1_sel:WORD_1
	v_fmac_f16_e32 v104, v107, v20
	s_waitcnt vmcnt(6)
	v_mul_f16_sdwa v107, v111, v17 dst_sel:DWORD dst_unused:UNUSED_PAD src0_sel:DWORD src1_sel:WORD_1
	v_fma_f16 v106, v46, v21, -v106
	v_mul_f16_sdwa v115, v47, v17 dst_sel:DWORD dst_unused:UNUSED_PAD src0_sel:DWORD src1_sel:WORD_1
	v_fmac_f16_e32 v112, v109, v21
	v_add_f16_e32 v46, v40, v42
	v_add_f16_e32 v109, v113, v103
	v_fma_f16 v107, v47, v17, -v107
	v_add_f16_e32 v47, v38, v40
	v_fmac_f16_e32 v115, v111, v17
	v_fma_f16 v38, -0.5, v46, v38
	v_sub_f16_e32 v46, v113, v103
	v_add_f16_e32 v111, v56, v113
	v_fmac_f16_e32 v56, -0.5, v109
	v_sub_f16_e32 v40, v40, v42
	v_add_f16_e32 v47, v47, v42
	v_fmamk_f16 v42, v46, 0x3aee, v38
	v_fmac_f16_e32 v38, 0xbaee, v46
	v_add_f16_e32 v46, v111, v103
	v_add_f16_e32 v103, v114, v43
	v_fmamk_f16 v109, v40, 0xbaee, v56
	v_fmac_f16_e32 v56, 0x3aee, v40
	v_add_f16_e32 v40, v41, v104
	v_add_f16_e32 v111, v39, v114
	v_fmac_f16_e32 v39, -0.5, v103
	v_sub_f16_e32 v103, v41, v104
	v_add_f16_e32 v41, v105, v41
	v_fmac_f16_e32 v105, -0.5, v40
	v_mul_f16_sdwa v113, v48, v22 dst_sel:DWORD dst_unused:UNUSED_PAD src0_sel:DWORD src1_sel:WORD_1
	v_sub_f16_e32 v40, v114, v43
	v_add_f16_e32 v111, v111, v43
	v_mul_f16_sdwa v43, v110, v22 dst_sel:DWORD dst_unused:UNUSED_PAD src0_sel:DWORD src1_sel:WORD_1
	v_fmamk_f16 v114, v103, 0x3aee, v39
	v_fmac_f16_e32 v113, v110, v22
	v_fmac_f16_e32 v39, 0xbaee, v103
	v_add_f16_e32 v103, v41, v104
	v_fma_f16 v48, v48, v22, -v43
	v_pack_b32_f16 v110, v47, v46
	v_add_f16_e32 v46, v112, v113
	v_fmamk_f16 v104, v40, 0xbaee, v105
	v_fmac_f16_e32 v105, 0x3aee, v40
	v_add_f16_e32 v47, v106, v48
	v_pack_b32_f16 v109, v42, v109
	v_pack_b32_f16 v38, v38, v56
	;; [unrolled: 1-line block ×3, first 2 shown]
	v_add_f16_e32 v103, v108, v112
	v_fmac_f16_e32 v108, -0.5, v46
	v_fma_f16 v111, -0.5, v47, v44
	v_sub_f16_e32 v112, v112, v113
	v_sub_f16_e32 v116, v106, v48
	ds_read2_b32 v[40:41], v71 offset0:40 offset1:45
	ds_read2_b32 v[42:43], v71 offset0:90 offset1:95
	;; [unrolled: 1-line block ×3, first 2 shown]
	ds_write_b32 v71, v109 offset:200
	v_fmamk_f16 v109, v112, 0x3aee, v111
	v_fmamk_f16 v118, v116, 0xbaee, v108
	v_pack_b32_f16 v39, v39, v105
	s_waitcnt lgkmcnt(8)
	v_lshrrev_b32_e32 v105, 16, v53
	ds_write_b32 v71, v38 offset:400
	v_mul_f16_sdwa v38, v117, v18 dst_sel:DWORD dst_unused:UNUSED_PAD src0_sel:DWORD src1_sel:WORD_1
	ds_write2_b32 v71, v110, v56 offset1:5
	v_pack_b32_f16 v56, v114, v104
	v_pack_b32_f16 v104, v109, v118
	v_lshrrev_b32_e32 v109, 16, v52
	s_waitcnt vmcnt(4)
	v_mul_f16_sdwa v119, v105, v25 dst_sel:DWORD dst_unused:UNUSED_PAD src0_sel:DWORD src1_sel:WORD_1
	v_fma_f16 v38, v49, v18, -v38
	v_mul_f16_sdwa v49, v49, v18 dst_sel:DWORD dst_unused:UNUSED_PAD src0_sel:DWORD src1_sel:WORD_1
	v_add_f16_e32 v44, v44, v106
	v_mul_f16_sdwa v110, v109, v27 dst_sel:DWORD dst_unused:UNUSED_PAD src0_sel:DWORD src1_sel:WORD_1
	v_fma_f16 v119, v53, v25, -v119
	v_mul_f16_sdwa v53, v53, v25 dst_sel:DWORD dst_unused:UNUSED_PAD src0_sel:DWORD src1_sel:WORD_1
	s_waitcnt lgkmcnt(9)
	v_lshrrev_b32_e32 v114, 16, v54
	v_lshrrev_b32_e32 v118, 16, v55
	ds_write2_b32 v71, v56, v104 offset0:55 offset1:60
	v_fma_f16 v56, v52, v27, -v110
	v_mul_f16_sdwa v52, v52, v27 dst_sel:DWORD dst_unused:UNUSED_PAD src0_sel:DWORD src1_sel:WORD_1
	v_fmac_f16_e32 v49, v117, v18
	v_fmac_f16_e32 v53, v105, v25
	v_add_f16_e32 v44, v44, v48
	v_add_f16_e32 v48, v103, v113
	;; [unrolled: 1-line block ×3, first 2 shown]
	v_lshrrev_b32_e32 v105, 16, v45
	v_mul_f16_sdwa v104, v114, v28 dst_sel:DWORD dst_unused:UNUSED_PAD src0_sel:DWORD src1_sel:WORD_1
	v_mul_f16_sdwa v110, v118, v26 dst_sel:DWORD dst_unused:UNUSED_PAD src0_sel:DWORD src1_sel:WORD_1
	v_fmac_f16_e32 v52, v109, v27
	v_fmac_f16_e32 v111, 0xbaee, v112
	;; [unrolled: 1-line block ×3, first 2 shown]
	v_add_f16_e32 v106, v115, v49
	v_add_f16_e32 v109, v45, v107
	v_fmac_f16_e32 v45, -0.5, v103
	v_sub_f16_e32 v103, v115, v49
	v_add_f16_e32 v112, v105, v115
	v_fma_f16 v104, v54, v28, -v104
	v_fma_f16 v110, v55, v26, -v110
	v_mul_f16_sdwa v54, v54, v28 dst_sel:DWORD dst_unused:UNUSED_PAD src0_sel:DWORD src1_sel:WORD_1
	v_fmac_f16_e32 v105, -0.5, v106
	v_add_f16_e32 v106, v109, v38
	v_sub_f16_e32 v38, v107, v38
	v_fmamk_f16 v107, v103, 0x3aee, v45
	v_fmac_f16_e32 v45, 0xbaee, v103
	v_add_f16_e32 v49, v112, v49
	v_pack_b32_f16 v103, v111, v108
	v_mul_f16_sdwa v55, v55, v26 dst_sel:DWORD dst_unused:UNUSED_PAD src0_sel:DWORD src1_sel:WORD_1
	v_fmac_f16_e32 v54, v114, v28
	v_fmamk_f16 v108, v38, 0xbaee, v105
	v_fmac_f16_e32 v105, 0x3aee, v38
	v_pack_b32_f16 v38, v44, v48
	v_pack_b32_f16 v44, v106, v49
	ds_write2_b32 v71, v39, v103 offset0:105 offset1:110
	v_add_f16_e32 v39, v119, v110
	v_fmac_f16_e32 v55, v118, v26
	v_lshrrev_b32_e32 v48, 16, v50
	v_lshrrev_b32_e32 v49, 16, v51
	ds_write2_b32 v71, v38, v44 offset0:10 offset1:15
	v_add_f16_e32 v38, v52, v54
	v_add_f16_e32 v44, v51, v119
	v_fmac_f16_e32 v51, -0.5, v39
	v_add_f16_e32 v39, v56, v104
	v_add_f16_e32 v106, v48, v52
	v_fmac_f16_e32 v48, -0.5, v38
	v_add_f16_e32 v38, v53, v55
	v_sub_f16_e32 v52, v52, v54
	v_fma_f16 v39, -0.5, v39, v50
	v_sub_f16_e32 v109, v56, v104
	v_sub_f16_e32 v103, v53, v55
	v_pack_b32_f16 v45, v45, v105
	v_add_f16_e32 v53, v49, v53
	v_fmac_f16_e32 v49, -0.5, v38
	v_fmamk_f16 v38, v52, 0x3aee, v39
	v_fmamk_f16 v105, v109, 0xbaee, v48
	v_sub_f16_e32 v111, v119, v110
	v_fmamk_f16 v112, v103, 0x3aee, v51
	v_fmac_f16_e32 v51, 0xbaee, v103
	v_pack_b32_f16 v103, v107, v108
	v_pack_b32_f16 v38, v38, v105
	s_waitcnt lgkmcnt(10)
	v_lshrrev_b32_e32 v107, 16, v99
	v_lshrrev_b32_e32 v108, 16, v100
	v_fmamk_f16 v105, v111, 0xbaee, v49
	v_fmac_f16_e32 v49, 0x3aee, v111
	ds_write2_b32 v71, v103, v38 offset0:65 offset1:70
	v_add_f16_e32 v38, v50, v56
	s_waitcnt vmcnt(3)
	v_mul_f16_sdwa v50, v107, v31 dst_sel:DWORD dst_unused:UNUSED_PAD src0_sel:DWORD src1_sel:WORD_1
	s_waitcnt vmcnt(2)
	v_mul_f16_sdwa v56, v108, v29 dst_sel:DWORD dst_unused:UNUSED_PAD src0_sel:DWORD src1_sel:WORD_1
	v_mul_f16_sdwa v103, v99, v31 dst_sel:DWORD dst_unused:UNUSED_PAD src0_sel:DWORD src1_sel:WORD_1
	v_pack_b32_f16 v49, v51, v49
	v_mul_f16_sdwa v51, v100, v29 dst_sel:DWORD dst_unused:UNUSED_PAD src0_sel:DWORD src1_sel:WORD_1
	v_fma_f16 v50, v99, v31, -v50
	v_fma_f16 v56, v100, v29, -v56
	s_waitcnt lgkmcnt(10)
	v_lshrrev_b32_e32 v99, 16, v101
	v_lshrrev_b32_e32 v100, 16, v102
	v_fmac_f16_e32 v103, v107, v31
	v_mul_f16_sdwa v107, v101, v32 dst_sel:DWORD dst_unused:UNUSED_PAD src0_sel:DWORD src1_sel:WORD_1
	v_fmac_f16_e32 v51, v108, v29
	v_mul_f16_sdwa v113, v99, v32 dst_sel:DWORD dst_unused:UNUSED_PAD src0_sel:DWORD src1_sel:WORD_1
	v_mul_f16_sdwa v114, v100, v30 dst_sel:DWORD dst_unused:UNUSED_PAD src0_sel:DWORD src1_sel:WORD_1
	s_waitcnt lgkmcnt(8)
	v_lshrrev_b32_e32 v108, 16, v42
	v_fmac_f16_e32 v107, v99, v32
	v_fmac_f16_e32 v39, 0xbaee, v52
	v_fma_f16 v101, v101, v32, -v113
	v_fma_f16 v114, v102, v30, -v114
	v_mul_f16_sdwa v102, v102, v30 dst_sel:DWORD dst_unused:UNUSED_PAD src0_sel:DWORD src1_sel:WORD_1
	s_waitcnt lgkmcnt(7)
	v_lshrrev_b32_e32 v113, 16, v46
	v_add_f16_e32 v52, v106, v54
	v_add_f16_e32 v54, v50, v101
	;; [unrolled: 1-line block ×3, first 2 shown]
	v_fmac_f16_e32 v102, v100, v30
	v_lshrrev_b32_e32 v55, 16, v97
	v_add_f16_e32 v100, v103, v107
	s_waitcnt vmcnt(1)
	v_mul_f16_sdwa v99, v108, v35 dst_sel:DWORD dst_unused:UNUSED_PAD src0_sel:DWORD src1_sel:WORD_1
	v_mul_f16_sdwa v117, v113, v36 dst_sel:DWORD dst_unused:UNUSED_PAD src0_sel:DWORD src1_sel:WORD_1
	v_add_f16_e32 v38, v38, v104
	v_add_f16_e32 v104, v97, v50
	v_fma_f16 v54, -0.5, v54, v97
	v_sub_f16_e32 v97, v103, v107
	v_add_f16_e32 v103, v55, v103
	v_fmac_f16_e32 v55, -0.5, v100
	v_sub_f16_e32 v50, v50, v101
	v_fma_f16 v99, v42, v35, -v99
	v_mul_f16_sdwa v42, v42, v35 dst_sel:DWORD dst_unused:UNUSED_PAD src0_sel:DWORD src1_sel:WORD_1
	v_fma_f16 v117, v46, v36, -v117
	v_mul_f16_sdwa v46, v46, v36 dst_sel:DWORD dst_unused:UNUSED_PAD src0_sel:DWORD src1_sel:WORD_1
	v_add_f16_e32 v100, v104, v101
	v_fmamk_f16 v101, v97, 0x3aee, v54
	v_fmac_f16_e32 v54, 0xbaee, v97
	v_add_f16_e32 v97, v103, v107
	v_fmamk_f16 v103, v50, 0xbaee, v55
	v_add_f16_e32 v104, v56, v114
	v_fmac_f16_e32 v55, 0x3aee, v50
	v_lshrrev_b32_e32 v50, 16, v98
	v_add_f16_e32 v106, v51, v102
	v_lshrrev_b32_e32 v111, 16, v43
	v_lshrrev_b32_e32 v116, 16, v47
	v_fmac_f16_e32 v42, v108, v35
	v_fmac_f16_e32 v46, v113, v36
	v_add_f16_e32 v107, v98, v56
	v_fmac_f16_e32 v98, -0.5, v104
	v_sub_f16_e32 v104, v51, v102
	v_add_f16_e32 v51, v50, v51
	v_fmac_f16_e32 v50, -0.5, v106
	v_sub_f16_e32 v56, v56, v114
	s_waitcnt vmcnt(0)
	v_mul_f16_sdwa v115, v111, v33 dst_sel:DWORD dst_unused:UNUSED_PAD src0_sel:DWORD src1_sel:WORD_1
	v_mul_f16_sdwa v118, v116, v34 dst_sel:DWORD dst_unused:UNUSED_PAD src0_sel:DWORD src1_sel:WORD_1
	v_add_f16_e32 v106, v107, v114
	v_fmamk_f16 v107, v104, 0x3aee, v98
	v_fmac_f16_e32 v98, 0xbaee, v104
	v_add_f16_e32 v51, v51, v102
	v_fmamk_f16 v102, v56, 0xbaee, v50
	v_add_f16_e32 v104, v99, v117
	v_fmac_f16_e32 v50, 0x3aee, v56
	v_lshrrev_b32_e32 v56, 16, v40
	v_add_f16_e32 v108, v42, v46
	v_fma_f16 v115, v43, v33, -v115
	v_mul_f16_sdwa v43, v43, v33 dst_sel:DWORD dst_unused:UNUSED_PAD src0_sel:DWORD src1_sel:WORD_1
	v_fma_f16 v118, v47, v34, -v118
	v_mul_f16_sdwa v47, v47, v34 dst_sel:DWORD dst_unused:UNUSED_PAD src0_sel:DWORD src1_sel:WORD_1
	v_fmac_f16_e32 v48, 0x3aee, v109
	v_add_f16_e32 v109, v40, v99
	v_fma_f16 v40, -0.5, v104, v40
	v_sub_f16_e32 v104, v42, v46
	v_add_f16_e32 v42, v56, v42
	v_fmac_f16_e32 v56, -0.5, v108
	v_sub_f16_e32 v99, v99, v117
	v_fmac_f16_e32 v43, v111, v33
	v_fmac_f16_e32 v47, v116, v34
	v_add_f16_e32 v108, v109, v117
	v_fmamk_f16 v109, v104, 0x3aee, v40
	v_fmac_f16_e32 v40, 0xbaee, v104
	v_add_f16_e32 v42, v42, v46
	v_add_f16_e32 v46, v115, v118
	v_fmamk_f16 v104, v99, 0xbaee, v56
	v_fmac_f16_e32 v56, 0x3aee, v99
	v_lshrrev_b32_e32 v99, 16, v41
	v_add_f16_e32 v44, v44, v110
	v_add_f16_e32 v110, v43, v47
	;; [unrolled: 1-line block ×3, first 2 shown]
	v_fmac_f16_e32 v41, -0.5, v46
	v_sub_f16_e32 v46, v43, v47
	v_add_f16_e32 v43, v99, v43
	v_fmac_f16_e32 v99, -0.5, v110
	v_sub_f16_e32 v110, v115, v118
	v_pack_b32_f16 v39, v39, v48
	v_pack_b32_f16 v38, v38, v52
	;; [unrolled: 1-line block ×3, first 2 shown]
	v_add_f16_e32 v111, v111, v118
	v_add_f16_e32 v43, v43, v47
	v_pack_b32_f16 v47, v112, v105
	v_pack_b32_f16 v52, v101, v103
	v_fmamk_f16 v113, v46, 0x3aee, v41
	v_fmac_f16_e32 v41, 0xbaee, v46
	v_fmamk_f16 v46, v110, 0xbaee, v99
	v_pack_b32_f16 v53, v54, v55
	v_fmac_f16_e32 v99, 0x3aee, v110
	v_pack_b32_f16 v48, v100, v97
	v_pack_b32_f16 v51, v106, v51
	ds_write2_b32 v71, v45, v39 offset0:115 offset1:120
	ds_write2_b32 v71, v38, v44 offset0:20 offset1:25
	;; [unrolled: 1-line block ×5, first 2 shown]
	v_pack_b32_f16 v38, v107, v102
	v_pack_b32_f16 v44, v109, v104
	;; [unrolled: 1-line block ×8, first 2 shown]
	ds_write2_b32 v71, v38, v44 offset0:85 offset1:90
	ds_write2_b32 v71, v39, v40 offset0:135 offset1:140
	;; [unrolled: 1-line block ×3, first 2 shown]
	ds_write_b32 v71, v45 offset:380
	ds_write_b32 v71, v41 offset:580
	s_waitcnt lgkmcnt(0)
	s_barrier
	buffer_gl0_inv
	s_clause 0x1d
	global_load_dword v43, v37, s[0:1] offset:600
	global_load_dword v44, v37, s[6:7] offset:20
	;; [unrolled: 1-line block ×30, first 2 shown]
	ds_read2_b32 v[37:38], v71 offset1:5
	ds_read2_b32 v[39:40], v71 offset0:30 offset1:35
	ds_read2_b32 v[41:42], v71 offset0:60 offset1:65
	s_mul_hi_u32 s6, s8, 0x78
	s_mul_i32 s7, s8, 0x78
	s_waitcnt lgkmcnt(2)
	v_lshrrev_b32_e32 v113, 16, v37
	v_lshrrev_b32_e32 v114, 16, v38
	s_waitcnt vmcnt(29)
	v_mul_f16_sdwa v115, v113, v43 dst_sel:DWORD dst_unused:UNUSED_PAD src0_sel:DWORD src1_sel:WORD_1
	v_mul_f16_sdwa v116, v37, v43 dst_sel:DWORD dst_unused:UNUSED_PAD src0_sel:DWORD src1_sel:WORD_1
	s_waitcnt vmcnt(28)
	v_mul_f16_sdwa v117, v114, v44 dst_sel:DWORD dst_unused:UNUSED_PAD src0_sel:DWORD src1_sel:WORD_1
	v_mul_f16_sdwa v118, v38, v44 dst_sel:DWORD dst_unused:UNUSED_PAD src0_sel:DWORD src1_sel:WORD_1
	s_waitcnt vmcnt(26) lgkmcnt(1)
	v_mul_f16_sdwa v121, v40, v46 dst_sel:DWORD dst_unused:UNUSED_PAD src0_sel:DWORD src1_sel:WORD_1
	v_fma_f16 v115, v37, v43, -v115
	v_fmac_f16_e32 v116, v113, v43
	v_lshrrev_b32_e32 v37, 16, v39
	v_mul_f16_sdwa v43, v39, v45 dst_sel:DWORD dst_unused:UNUSED_PAD src0_sel:DWORD src1_sel:WORD_1
	v_lshrrev_b32_e32 v113, 16, v40
	v_fma_f16 v117, v38, v44, -v117
	v_fmac_f16_e32 v118, v114, v44
	v_mul_f16_sdwa v119, v37, v45 dst_sel:DWORD dst_unused:UNUSED_PAD src0_sel:DWORD src1_sel:WORD_1
	v_fmac_f16_e32 v43, v37, v45
	ds_read2_b32 v[37:38], v71 offset0:90 offset1:95
	v_mul_f16_sdwa v120, v113, v46 dst_sel:DWORD dst_unused:UNUSED_PAD src0_sel:DWORD src1_sel:WORD_1
	v_fmac_f16_e32 v121, v113, v46
	v_fma_f16 v39, v39, v45, -v119
	s_waitcnt lgkmcnt(1)
	v_lshrrev_b32_e32 v44, 16, v41
	v_pack_b32_f16 v45, v115, v116
	v_fma_f16 v40, v40, v46, -v120
	s_waitcnt vmcnt(25)
	v_mul_f16_sdwa v46, v41, v47 dst_sel:DWORD dst_unused:UNUSED_PAD src0_sel:DWORD src1_sel:WORD_1
	v_pack_b32_f16 v43, v39, v43
	v_pack_b32_f16 v39, v117, v118
	v_lshrrev_b32_e32 v114, 16, v42
	v_mul_f16_sdwa v113, v44, v47 dst_sel:DWORD dst_unused:UNUSED_PAD src0_sel:DWORD src1_sel:WORD_1
	v_fmac_f16_e32 v46, v44, v47
	v_pack_b32_f16 v44, v40, v121
	ds_write2_b32 v71, v45, v39 offset1:5
	ds_read2_b32 v[39:40], v71 offset0:120 offset1:125
	s_waitcnt vmcnt(24)
	v_mul_f16_sdwa v45, v114, v48 dst_sel:DWORD dst_unused:UNUSED_PAD src0_sel:DWORD src1_sel:WORD_1
	v_mul_f16_sdwa v115, v42, v48 dst_sel:DWORD dst_unused:UNUSED_PAD src0_sel:DWORD src1_sel:WORD_1
	v_fma_f16 v47, v41, v47, -v113
	ds_write2_b32 v71, v43, v44 offset0:30 offset1:35
	s_waitcnt lgkmcnt(3)
	v_lshrrev_b32_e32 v43, 16, v37
	v_fma_f16 v44, v42, v48, -v45
	v_lshrrev_b32_e32 v45, 16, v38
	ds_read2_b32 v[41:42], v71 offset0:10 offset1:15
	v_fmac_f16_e32 v115, v114, v48
	s_waitcnt vmcnt(23)
	v_mul_f16_sdwa v48, v37, v49 dst_sel:DWORD dst_unused:UNUSED_PAD src0_sel:DWORD src1_sel:WORD_1
	v_mul_f16_sdwa v113, v43, v49 dst_sel:DWORD dst_unused:UNUSED_PAD src0_sel:DWORD src1_sel:WORD_1
	v_pack_b32_f16 v46, v47, v46
	s_waitcnt vmcnt(22)
	v_mul_f16_sdwa v47, v45, v50 dst_sel:DWORD dst_unused:UNUSED_PAD src0_sel:DWORD src1_sel:WORD_1
	v_mul_f16_sdwa v114, v38, v50 dst_sel:DWORD dst_unused:UNUSED_PAD src0_sel:DWORD src1_sel:WORD_1
	v_fmac_f16_e32 v48, v43, v49
	v_fma_f16 v37, v37, v49, -v113
	v_pack_b32_f16 v43, v44, v115
	v_fma_f16 v38, v38, v50, -v47
	v_fmac_f16_e32 v114, v45, v50
	s_waitcnt lgkmcnt(2)
	v_lshrrev_b32_e32 v44, 16, v39
	s_waitcnt vmcnt(21)
	v_mul_f16_sdwa v45, v39, v51 dst_sel:DWORD dst_unused:UNUSED_PAD src0_sel:DWORD src1_sel:WORD_1
	ds_write2_b32 v71, v46, v43 offset0:60 offset1:65
	v_pack_b32_f16 v43, v37, v48
	v_pack_b32_f16 v46, v38, v114
	v_lshrrev_b32_e32 v47, 16, v40
	v_fmac_f16_e32 v45, v44, v51
	v_mul_f16_sdwa v44, v44, v51 dst_sel:DWORD dst_unused:UNUSED_PAD src0_sel:DWORD src1_sel:WORD_1
	s_waitcnt lgkmcnt(1)
	v_lshrrev_b32_e32 v49, 16, v41
	ds_write2_b32 v71, v43, v46 offset0:90 offset1:95
	v_lshrrev_b32_e32 v43, 16, v42
	s_waitcnt vmcnt(20)
	v_mul_f16_sdwa v46, v47, v52 dst_sel:DWORD dst_unused:UNUSED_PAD src0_sel:DWORD src1_sel:WORD_1
	v_mul_f16_sdwa v50, v40, v52 dst_sel:DWORD dst_unused:UNUSED_PAD src0_sel:DWORD src1_sel:WORD_1
	ds_read2_b32 v[37:38], v71 offset0:20 offset1:25
	s_waitcnt vmcnt(19)
	v_mul_f16_sdwa v48, v42, v53 dst_sel:DWORD dst_unused:UNUSED_PAD src0_sel:DWORD src1_sel:WORD_1
	v_fma_f16 v39, v39, v51, -v44
	v_mul_f16_sdwa v51, v43, v53 dst_sel:DWORD dst_unused:UNUSED_PAD src0_sel:DWORD src1_sel:WORD_1
	s_waitcnt vmcnt(15)
	v_mul_f16_sdwa v113, v49, v97 dst_sel:DWORD dst_unused:UNUSED_PAD src0_sel:DWORD src1_sel:WORD_1
	v_mul_f16_sdwa v114, v41, v97 dst_sel:DWORD dst_unused:UNUSED_PAD src0_sel:DWORD src1_sel:WORD_1
	v_fma_f16 v40, v40, v52, -v46
	v_fmac_f16_e32 v50, v47, v52
	v_fmac_f16_e32 v48, v43, v53
	ds_read2_b32 v[43:44], v71 offset0:40 offset1:45
	v_fma_f16 v42, v42, v53, -v51
	v_fma_f16 v41, v41, v97, -v113
	v_fmac_f16_e32 v114, v49, v97
	v_pack_b32_f16 v45, v39, v45
	v_pack_b32_f16 v47, v40, v50
	;; [unrolled: 1-line block ×3, first 2 shown]
	ds_read2_b32 v[39:40], v71 offset0:50 offset1:55
	v_pack_b32_f16 v41, v41, v114
	ds_write2_b32 v71, v45, v47 offset0:120 offset1:125
	ds_write2_b32 v71, v41, v42 offset0:10 offset1:15
	ds_read2_b32 v[41:42], v71 offset0:70 offset1:75
	s_waitcnt lgkmcnt(5)
	v_lshrrev_b32_e32 v46, 16, v37
	v_lshrrev_b32_e32 v48, 16, v38
	v_mul_f16_sdwa v50, v37, v54 dst_sel:DWORD dst_unused:UNUSED_PAD src0_sel:DWORD src1_sel:WORD_1
	v_mul_f16_sdwa v53, v38, v56 dst_sel:DWORD dst_unused:UNUSED_PAD src0_sel:DWORD src1_sel:WORD_1
	;; [unrolled: 1-line block ×4, first 2 shown]
	s_waitcnt lgkmcnt(4)
	v_lshrrev_b32_e32 v47, 16, v44
	v_fmac_f16_e32 v50, v46, v54
	s_waitcnt vmcnt(14)
	v_mul_f16_sdwa v51, v44, v98 dst_sel:DWORD dst_unused:UNUSED_PAD src0_sel:DWORD src1_sel:WORD_1
	v_lshrrev_b32_e32 v46, 16, v43
	v_fma_f16 v52, v38, v56, -v45
	v_mul_f16_sdwa v45, v47, v98 dst_sel:DWORD dst_unused:UNUSED_PAD src0_sel:DWORD src1_sel:WORD_1
	v_fmac_f16_e32 v53, v48, v56
	v_fmac_f16_e32 v51, v47, v98
	v_mul_f16_sdwa v47, v46, v55 dst_sel:DWORD dst_unused:UNUSED_PAD src0_sel:DWORD src1_sel:WORD_1
	s_waitcnt lgkmcnt(3)
	v_lshrrev_b32_e32 v48, 16, v39
	v_mul_f16_sdwa v97, v43, v55 dst_sel:DWORD dst_unused:UNUSED_PAD src0_sel:DWORD src1_sel:WORD_1
	v_fma_f16 v49, v37, v54, -v49
	ds_read2_b32 v[37:38], v71 offset0:100 offset1:105
	v_fma_f16 v54, v44, v98, -v45
	s_waitcnt vmcnt(13)
	v_mul_f16_sdwa v98, v39, v99 dst_sel:DWORD dst_unused:UNUSED_PAD src0_sel:DWORD src1_sel:WORD_1
	v_fma_f16 v113, v43, v55, -v47
	v_mul_f16_sdwa v43, v48, v99 dst_sel:DWORD dst_unused:UNUSED_PAD src0_sel:DWORD src1_sel:WORD_1
	v_fmac_f16_e32 v97, v46, v55
	s_waitcnt lgkmcnt(1)
	v_lshrrev_b32_e32 v46, 16, v42
	v_lshrrev_b32_e32 v56, 16, v40
	v_fmac_f16_e32 v98, v48, v99
	v_fma_f16 v48, v39, v99, -v43
	s_waitcnt vmcnt(10)
	v_mul_f16_sdwa v99, v40, v102 dst_sel:DWORD dst_unused:UNUSED_PAD src0_sel:DWORD src1_sel:WORD_1
	s_waitcnt vmcnt(9)
	v_mul_f16_sdwa v43, v46, v103 dst_sel:DWORD dst_unused:UNUSED_PAD src0_sel:DWORD src1_sel:WORD_1
	ds_read2_b32 v[44:45], v71 offset0:130 offset1:135
	v_mul_f16_sdwa v47, v56, v102 dst_sel:DWORD dst_unused:UNUSED_PAD src0_sel:DWORD src1_sel:WORD_1
	v_mul_f16_sdwa v114, v42, v103 dst_sel:DWORD dst_unused:UNUSED_PAD src0_sel:DWORD src1_sel:WORD_1
	v_fmac_f16_e32 v99, v56, v102
	v_fma_f16 v56, v42, v103, -v43
	ds_read2_b32 v[42:43], v71 offset0:110 offset1:115
	v_fma_f16 v55, v40, v102, -v47
	ds_read2_b32 v[39:40], v71 offset0:80 offset1:85
	s_waitcnt lgkmcnt(3)
	v_lshrrev_b32_e32 v115, 16, v38
	s_waitcnt vmcnt(8)
	v_mul_f16_sdwa v116, v38, v104 dst_sel:DWORD dst_unused:UNUSED_PAD src0_sel:DWORD src1_sel:WORD_1
	v_fmac_f16_e32 v114, v46, v103
	v_lshrrev_b32_e32 v103, 16, v41
	ds_read2_b32 v[46:47], v71 offset0:140 offset1:145
	v_mul_f16_sdwa v117, v115, v104 dst_sel:DWORD dst_unused:UNUSED_PAD src0_sel:DWORD src1_sel:WORD_1
	v_fmac_f16_e32 v116, v115, v104
	v_pack_b32_f16 v49, v49, v50
	v_mul_f16_sdwa v120, v103, v101 dst_sel:DWORD dst_unused:UNUSED_PAD src0_sel:DWORD src1_sel:WORD_1
	v_pack_b32_f16 v51, v54, v51
	v_fma_f16 v38, v38, v104, -v117
	v_pack_b32_f16 v48, v48, v98
	s_waitcnt lgkmcnt(3)
	v_lshrrev_b32_e32 v102, 16, v45
	s_waitcnt vmcnt(7)
	v_mul_f16_sdwa v118, v45, v105 dst_sel:DWORD dst_unused:UNUSED_PAD src0_sel:DWORD src1_sel:WORD_1
	v_pack_b32_f16 v54, v56, v114
	v_pack_b32_f16 v38, v38, v116
	s_waitcnt lgkmcnt(2)
	v_lshrrev_b32_e32 v104, 16, v42
	v_mul_f16_sdwa v119, v102, v105 dst_sel:DWORD dst_unused:UNUSED_PAD src0_sel:DWORD src1_sel:WORD_1
	v_fmac_f16_e32 v118, v102, v105
	v_fma_f16 v102, v41, v101, -v120
	v_mul_f16_sdwa v41, v41, v101 dst_sel:DWORD dst_unused:UNUSED_PAD src0_sel:DWORD src1_sel:WORD_1
	s_waitcnt vmcnt(6)
	v_mul_f16_sdwa v50, v104, v106 dst_sel:DWORD dst_unused:UNUSED_PAD src0_sel:DWORD src1_sel:WORD_1
	v_fma_f16 v45, v45, v105, -v119
	v_mul_f16_sdwa v105, v42, v106 dst_sel:DWORD dst_unused:UNUSED_PAD src0_sel:DWORD src1_sel:WORD_1
	s_waitcnt lgkmcnt(1)
	v_lshrrev_b32_e32 v56, 16, v39
	v_fmac_f16_e32 v41, v103, v101
	v_fma_f16 v42, v42, v106, -v50
	v_pack_b32_f16 v50, v52, v53
	v_pack_b32_f16 v52, v113, v97
	;; [unrolled: 1-line block ×4, first 2 shown]
	v_mul_f16_sdwa v101, v39, v100 dst_sel:DWORD dst_unused:UNUSED_PAD src0_sel:DWORD src1_sel:WORD_1
	ds_write2_b32 v71, v49, v50 offset0:20 offset1:25
	v_lshrrev_b32_e32 v49, 16, v40
	ds_write2_b32 v71, v52, v51 offset0:40 offset1:45
	ds_write2_b32 v71, v48, v53 offset0:50 offset1:55
	v_lshrrev_b32_e32 v48, 16, v37
	s_waitcnt lgkmcnt(3)
	v_lshrrev_b32_e32 v114, 16, v46
	ds_write2_b32 v71, v41, v54 offset0:70 offset1:75
	s_waitcnt vmcnt(2)
	v_mul_f16_sdwa v50, v49, v110 dst_sel:DWORD dst_unused:UNUSED_PAD src0_sel:DWORD src1_sel:WORD_1
	v_mul_f16_sdwa v41, v40, v110 dst_sel:DWORD dst_unused:UNUSED_PAD src0_sel:DWORD src1_sel:WORD_1
	v_lshrrev_b32_e32 v51, 16, v43
	v_mul_f16_sdwa v52, v48, v109 dst_sel:DWORD dst_unused:UNUSED_PAD src0_sel:DWORD src1_sel:WORD_1
	v_mul_f16_sdwa v103, v56, v100 dst_sel:DWORD dst_unused:UNUSED_PAD src0_sel:DWORD src1_sel:WORD_1
	v_fmac_f16_e32 v101, v56, v100
	v_mul_f16_sdwa v56, v46, v107 dst_sel:DWORD dst_unused:UNUSED_PAD src0_sel:DWORD src1_sel:WORD_1
	v_mul_f16_sdwa v115, v114, v107 dst_sel:DWORD dst_unused:UNUSED_PAD src0_sel:DWORD src1_sel:WORD_1
	v_fma_f16 v40, v40, v110, -v50
	v_mul_f16_sdwa v50, v37, v109 dst_sel:DWORD dst_unused:UNUSED_PAD src0_sel:DWORD src1_sel:WORD_1
	v_fmac_f16_e32 v41, v49, v110
	v_mul_f16_sdwa v49, v51, v108 dst_sel:DWORD dst_unused:UNUSED_PAD src0_sel:DWORD src1_sel:WORD_1
	v_fma_f16 v37, v37, v109, -v52
	v_lshrrev_b32_e32 v52, 16, v44
	v_fmac_f16_e32 v56, v114, v107
	v_fma_f16 v46, v46, v107, -v115
	v_fmac_f16_e32 v50, v48, v109
	v_lshrrev_b32_e32 v48, 16, v47
	v_fma_f16 v49, v43, v108, -v49
	v_mul_f16_sdwa v43, v43, v108 dst_sel:DWORD dst_unused:UNUSED_PAD src0_sel:DWORD src1_sel:WORD_1
	s_waitcnt vmcnt(0)
	v_mul_f16_sdwa v53, v52, v112 dst_sel:DWORD dst_unused:UNUSED_PAD src0_sel:DWORD src1_sel:WORD_1
	v_mul_f16_sdwa v54, v44, v112 dst_sel:DWORD dst_unused:UNUSED_PAD src0_sel:DWORD src1_sel:WORD_1
	v_pack_b32_f16 v46, v46, v56
	v_mul_f16_sdwa v55, v48, v111 dst_sel:DWORD dst_unused:UNUSED_PAD src0_sel:DWORD src1_sel:WORD_1
	v_mul_f16_sdwa v56, v47, v111 dst_sel:DWORD dst_unused:UNUSED_PAD src0_sel:DWORD src1_sel:WORD_1
	v_fma_f16 v39, v39, v100, -v103
	v_fmac_f16_e32 v105, v104, v106
	v_fmac_f16_e32 v43, v51, v108
	v_fma_f16 v44, v44, v112, -v53
	v_fmac_f16_e32 v54, v52, v112
	v_fma_f16 v47, v47, v111, -v55
	v_fmac_f16_e32 v56, v48, v111
	v_pack_b32_f16 v39, v39, v101
	v_pack_b32_f16 v40, v40, v41
	;; [unrolled: 1-line block ×8, first 2 shown]
	ds_write2_b32 v71, v39, v40 offset0:80 offset1:85
	ds_write2_b32 v71, v37, v38 offset0:100 offset1:105
	;; [unrolled: 1-line block ×5, first 2 shown]
	s_waitcnt lgkmcnt(0)
	s_barrier
	buffer_gl0_inv
	ds_read2_b32 v[39:40], v71 offset0:30 offset1:35
	ds_read2_b32 v[37:38], v71 offset0:120 offset1:125
	;; [unrolled: 1-line block ×4, first 2 shown]
	ds_read2_b32 v[41:42], v71 offset1:5
	ds_read2_b32 v[51:52], v71 offset0:40 offset1:45
	s_waitcnt lgkmcnt(4)
	v_add_f16_e32 v47, v39, v37
	v_sub_f16_sdwa v113, v39, v37 dst_sel:DWORD dst_unused:UNUSED_PAD src0_sel:WORD_1 src1_sel:WORD_1
	s_waitcnt lgkmcnt(2)
	v_sub_f16_sdwa v111, v45, v43 dst_sel:DWORD dst_unused:UNUSED_PAD src0_sel:WORD_1 src1_sel:WORD_1
	v_add_f16_sdwa v97, v45, v43 dst_sel:DWORD dst_unused:UNUSED_PAD src0_sel:WORD_1 src1_sel:WORD_1
	s_waitcnt lgkmcnt(1)
	v_lshrrev_b32_e32 v115, 16, v41
	v_fma_f16 v112, -0.5, v47, v41
	ds_read2_b32 v[53:54], v71 offset0:70 offset1:75
	ds_read2_b32 v[47:48], v71 offset0:100 offset1:105
	;; [unrolled: 1-line block ×4, first 2 shown]
	v_sub_f16_e32 v98, v43, v37
	v_add_f16_sdwa v99, v39, v37 dst_sel:DWORD dst_unused:UNUSED_PAD src0_sel:WORD_1 src1_sel:WORD_1
	v_fmamk_f16 v114, v111, 0x3b9c, v112
	v_sub_f16_e32 v100, v45, v39
	v_fmac_f16_e32 v112, 0xbb9c, v111
	v_fma_f16 v116, -0.5, v97, v115
	v_fmac_f16_e32 v115, -0.5, v99
	v_fmac_f16_e32 v114, 0xb8b4, v113
	v_add_f16_e32 v97, v100, v98
	v_fmac_f16_e32 v112, 0x38b4, v113
	v_sub_f16_sdwa v98, v45, v39 dst_sel:DWORD dst_unused:UNUSED_PAD src0_sel:WORD_1 src1_sel:WORD_1
	v_sub_f16_sdwa v99, v43, v37 dst_sel:DWORD dst_unused:UNUSED_PAD src0_sel:WORD_1 src1_sel:WORD_1
	v_sub_f16_e32 v117, v45, v43
	v_fmac_f16_e32 v114, 0x34f2, v97
	v_fmac_f16_e32 v112, 0x34f2, v97
	v_sub_f16_e32 v118, v39, v37
	v_add_f16_e32 v97, v98, v99
	s_waitcnt lgkmcnt(2)
	v_add_f16_sdwa v98, v54, v48 dst_sel:DWORD dst_unused:UNUSED_PAD src0_sel:WORD_1 src1_sel:WORD_1
	s_waitcnt lgkmcnt(1)
	v_add_f16_sdwa v101, v52, v50 dst_sel:DWORD dst_unused:UNUSED_PAD src0_sel:WORD_1 src1_sel:WORD_1
	s_waitcnt lgkmcnt(0)
	v_lshrrev_b32_e32 v99, 16, v56
	v_add_f16_e32 v100, v52, v50
	v_sub_f16_e32 v122, v54, v48
	v_sub_f16_sdwa v120, v54, v48 dst_sel:DWORD dst_unused:UNUSED_PAD src0_sel:WORD_1 src1_sel:WORD_1
	v_sub_f16_sdwa v102, v54, v52 dst_sel:DWORD dst_unused:UNUSED_PAD src0_sel:WORD_1 src1_sel:WORD_1
	v_fma_f16 v121, -0.5, v98, v99
	v_fmac_f16_e32 v99, -0.5, v101
	v_fma_f16 v100, -0.5, v100, v56
	v_sub_f16_sdwa v103, v48, v50 dst_sel:DWORD dst_unused:UNUSED_PAD src0_sel:WORD_1 src1_sel:WORD_1
	v_sub_f16_e32 v109, v52, v50
	v_fmamk_f16 v119, v117, 0xbb9c, v115
	v_fmamk_f16 v104, v122, 0xbb9c, v99
	v_fmac_f16_e32 v99, 0x3b9c, v122
	v_fmac_f16_e32 v115, 0x3b9c, v117
	v_sub_f16_e32 v98, v48, v50
	v_sub_f16_e32 v101, v54, v52
	v_fmamk_f16 v105, v120, 0x3b9c, v100
	v_fmac_f16_e32 v100, 0xbb9c, v120
	v_sub_f16_sdwa v123, v52, v50 dst_sel:DWORD dst_unused:UNUSED_PAD src0_sel:WORD_1 src1_sel:WORD_1
	v_add_f16_e32 v102, v102, v103
	v_fmac_f16_e32 v99, 0xb8b4, v109
	v_fmac_f16_e32 v119, 0x38b4, v118
	;; [unrolled: 1-line block ×3, first 2 shown]
	v_add_f16_e32 v98, v101, v98
	v_fmac_f16_e32 v100, 0x38b4, v123
	v_fmac_f16_e32 v99, 0x34f2, v102
	;; [unrolled: 1-line block ×6, first 2 shown]
	v_mul_f16_e32 v124, 0xbb9c, v99
	v_mul_f16_e32 v125, 0xb4f2, v99
	v_add_f16_e32 v97, v54, v48
	v_fmac_f16_e32 v104, 0x34f2, v102
	v_sub_f16_sdwa v101, v50, v48 dst_sel:DWORD dst_unused:UNUSED_PAD src0_sel:WORD_1 src1_sel:WORD_1
	v_fmac_f16_e32 v124, 0xb4f2, v100
	v_fmac_f16_e32 v125, 0x3b9c, v100
	v_sub_f16_sdwa v100, v52, v54 dst_sel:DWORD dst_unused:UNUSED_PAD src0_sel:WORD_1 src1_sel:WORD_1
	v_fma_f16 v128, -0.5, v97, v56
	v_sub_f16_e32 v102, v50, v48
	v_sub_f16_e32 v103, v52, v54
	v_fmac_f16_e32 v105, 0xb8b4, v123
	v_fmamk_f16 v97, v109, 0x3b9c, v121
	v_add_f16_e32 v129, v100, v101
	v_fmamk_f16 v100, v123, 0xbb9c, v128
	v_add_f16_e32 v130, v103, v102
	v_add_f16_e32 v103, v45, v43
	v_fmac_f16_e32 v105, 0x34f2, v98
	v_mul_f16_e32 v126, 0xbb9c, v104
	v_mul_f16_e32 v127, 0x34f2, v104
	v_fmac_f16_e32 v97, 0x38b4, v122
	v_fmac_f16_e32 v100, 0xb8b4, v120
	v_fma_f16 v131, -0.5, v103, v41
	v_fmac_f16_e32 v126, 0x34f2, v105
	v_fmac_f16_e32 v127, 0x3b9c, v105
	v_sub_f16_e32 v101, v37, v43
	v_sub_f16_e32 v104, v39, v45
	v_fmac_f16_e32 v97, 0x34f2, v129
	v_sub_f16_sdwa v102, v39, v45 dst_sel:DWORD dst_unused:UNUSED_PAD src0_sel:WORD_1 src1_sel:WORD_1
	v_sub_f16_sdwa v105, v37, v43 dst_sel:DWORD dst_unused:UNUSED_PAD src0_sel:WORD_1 src1_sel:WORD_1
	v_fmac_f16_e32 v100, 0x34f2, v130
	v_pk_add_f16 v39, v41, v39
	v_fmamk_f16 v41, v113, 0xbb9c, v131
	v_fmamk_f16 v134, v118, 0x3b9c, v116
	v_mul_f16_e32 v110, 0xb8b4, v97
	v_add_f16_e32 v132, v104, v101
	v_add_f16_e32 v133, v102, v105
	v_pk_add_f16 v52, v56, v52
	v_mul_f16_e32 v56, 0x38b4, v100
	v_pk_add_f16 v39, v39, v45
	v_fmac_f16_e32 v41, 0xb8b4, v111
	v_fmac_f16_e32 v134, 0x38b4, v117
	;; [unrolled: 1-line block ×4, first 2 shown]
	v_pk_add_f16 v45, v52, v54
	v_fmac_f16_e32 v56, 0x3a79, v97
	v_pk_add_f16 v39, v39, v43
	v_fmac_f16_e32 v41, 0x34f2, v132
	v_fmac_f16_e32 v134, 0x34f2, v133
	;; [unrolled: 1-line block ×4, first 2 shown]
	v_add_f16_e32 v106, v114, v126
	v_pk_add_f16 v43, v45, v48
	v_add_f16_e32 v45, v119, v127
	v_pk_add_f16 v37, v39, v37
	v_add_f16_e32 v39, v41, v110
	v_add_f16_e32 v48, v134, v56
	v_fmac_f16_e32 v131, 0x3b9c, v113
	v_fmac_f16_e32 v116, 0xbb9c, v118
	;; [unrolled: 1-line block ×4, first 2 shown]
	v_add_f16_e32 v98, v112, v124
	v_add_f16_e32 v99, v115, v125
	v_pk_add_f16 v43, v43, v50
	v_pack_b32_f16 v97, v106, v45
	v_pack_b32_f16 v100, v39, v48
	ds_read2_b32 v[101:102], v71 offset0:20 offset1:25
	ds_read2_b32 v[103:104], v71 offset0:50 offset1:55
	;; [unrolled: 1-line block ×4, first 2 shown]
	v_sub_f16_e32 v39, v41, v110
	ds_read2_b32 v[109:110], v71 offset0:140 offset1:145
	v_fmac_f16_e32 v131, 0x38b4, v111
	v_fmac_f16_e32 v116, 0xb8b4, v117
	v_fmac_f16_e32 v128, 0x34f2, v130
	v_mul_f16_e32 v48, 0xb8b4, v121
	v_mul_f16_e32 v50, 0xba79, v121
	v_pack_b32_f16 v98, v98, v99
	v_pk_add_f16 v99, v37, v43
	v_sub_f16_e32 v41, v114, v126
	v_sub_f16_e32 v45, v119, v127
	;; [unrolled: 1-line block ×3, first 2 shown]
	v_fmac_f16_e32 v131, 0x34f2, v132
	v_fmac_f16_e32 v116, 0x34f2, v133
	;; [unrolled: 1-line block ×4, first 2 shown]
	v_pk_add_f16 v54, v42, v40
	s_waitcnt lgkmcnt(0)
	s_barrier
	buffer_gl0_inv
	ds_write2_b64 v92, v[99:100], v[97:98] offset1:1
	v_pack_b32_f16 v98, v41, v45
	v_pack_b32_f16 v97, v39, v52
	v_add_f16_e32 v39, v131, v48
	v_add_f16_e32 v41, v116, v50
	v_sub_f16_e32 v45, v112, v124
	v_sub_f16_e32 v48, v131, v48
	;; [unrolled: 1-line block ×4, first 2 shown]
	v_pk_add_f16 v100, v37, v43 neg_lo:[0,1] neg_hi:[0,1]
	v_pk_add_f16 v37, v54, v46
	v_pack_b32_f16 v99, v39, v41
	v_pack_b32_f16 v112, v48, v50
	;; [unrolled: 1-line block ×3, first 2 shown]
	v_add_f16_e32 v39, v46, v44
	v_sub_f16_sdwa v41, v46, v44 dst_sel:DWORD dst_unused:UNUSED_PAD src0_sel:WORD_1 src1_sel:WORD_1
	v_sub_f16_e32 v43, v40, v46
	v_sub_f16_e32 v45, v46, v40
	v_add_f16_sdwa v48, v46, v44 dst_sel:DWORD dst_unused:UNUSED_PAD src0_sel:WORD_1 src1_sel:WORD_1
	v_sub_f16_e32 v50, v46, v44
	v_sub_f16_sdwa v52, v40, v46 dst_sel:DWORD dst_unused:UNUSED_PAD src0_sel:WORD_1 src1_sel:WORD_1
	v_sub_f16_sdwa v46, v46, v40 dst_sel:DWORD dst_unused:UNUSED_PAD src0_sel:WORD_1 src1_sel:WORD_1
	v_add_f16_e32 v54, v40, v38
	v_sub_f16_sdwa v56, v40, v38 dst_sel:DWORD dst_unused:UNUSED_PAD src0_sel:WORD_1 src1_sel:WORD_1
	v_sub_f16_e32 v113, v40, v38
	v_add_f16_sdwa v40, v40, v38 dst_sel:DWORD dst_unused:UNUSED_PAD src0_sel:WORD_1 src1_sel:WORD_1
	v_pk_add_f16 v37, v37, v44
	v_sub_f16_e32 v114, v38, v44
	v_sub_f16_e32 v115, v44, v38
	v_sub_f16_sdwa v116, v38, v44 dst_sel:DWORD dst_unused:UNUSED_PAD src0_sel:WORD_1 src1_sel:WORD_1
	v_lshrrev_b32_e32 v117, 16, v42
	v_sub_f16_sdwa v44, v44, v38 dst_sel:DWORD dst_unused:UNUSED_PAD src0_sel:WORD_1 src1_sel:WORD_1
	v_fma_f16 v54, -0.5, v54, v42
	v_add_f16_e32 v45, v45, v115
	v_pk_add_f16 v115, v37, v38
	v_fma_f16 v48, -0.5, v48, v117
	v_fmac_f16_e32 v117, -0.5, v40
	v_fma_f16 v42, -0.5, v39, v42
	v_add_f16_e32 v37, v46, v44
	v_add_f16_sdwa v39, v105, v107 dst_sel:DWORD dst_unused:UNUSED_PAD src0_sel:WORD_1 src1_sel:WORD_1
	v_lshrrev_b32_e32 v40, 16, v101
	v_add_f16_sdwa v44, v103, v109 dst_sel:DWORD dst_unused:UNUSED_PAD src0_sel:WORD_1 src1_sel:WORD_1
	v_fmamk_f16 v118, v41, 0x3b9c, v54
	v_fmac_f16_e32 v54, 0xbb9c, v41
	v_add_f16_e32 v38, v103, v109
	v_fma_f16 v120, -0.5, v39, v40
	v_fmac_f16_e32 v40, -0.5, v44
	v_sub_f16_e32 v44, v105, v107
	v_fmac_f16_e32 v118, 0xb8b4, v56
	v_fmac_f16_e32 v54, 0x38b4, v56
	v_fma_f16 v38, -0.5, v38, v101
	v_sub_f16_sdwa v121, v105, v107 dst_sel:DWORD dst_unused:UNUSED_PAD src0_sel:WORD_1 src1_sel:WORD_1
	v_sub_f16_sdwa v39, v105, v103 dst_sel:DWORD dst_unused:UNUSED_PAD src0_sel:WORD_1 src1_sel:WORD_1
	;; [unrolled: 1-line block ×3, first 2 shown]
	v_fmamk_f16 v123, v44, 0xbb9c, v40
	v_sub_f16_e32 v124, v103, v109
	v_fmac_f16_e32 v118, 0x34f2, v45
	v_fmamk_f16 v119, v50, 0xbb9c, v117
	v_fmac_f16_e32 v117, 0x3b9c, v50
	v_fmac_f16_e32 v54, 0x34f2, v45
	v_sub_f16_e32 v45, v107, v109
	v_sub_f16_e32 v46, v105, v103
	v_fmac_f16_e32 v40, 0x3b9c, v44
	v_fmamk_f16 v125, v121, 0x3b9c, v38
	v_sub_f16_sdwa v126, v103, v109 dst_sel:DWORD dst_unused:UNUSED_PAD src0_sel:WORD_1 src1_sel:WORD_1
	v_add_f16_e32 v39, v39, v122
	v_fmac_f16_e32 v123, 0x38b4, v124
	v_fmac_f16_e32 v119, 0x38b4, v113
	v_fmac_f16_e32 v117, 0xb8b4, v113
	v_fmac_f16_e32 v38, 0xbb9c, v121
	v_fmac_f16_e32 v40, 0xb8b4, v124
	v_add_f16_e32 v45, v46, v45
	v_fmac_f16_e32 v125, 0xb8b4, v126
	v_fmac_f16_e32 v123, 0x34f2, v39
	;; [unrolled: 1-line block ×7, first 2 shown]
	v_mul_f16_e32 v122, 0xbb9c, v123
	v_mul_f16_e32 v123, 0x34f2, v123
	v_add_f16_e32 v37, v105, v107
	v_fmac_f16_e32 v38, 0x34f2, v45
	v_mul_f16_e32 v46, 0xbb9c, v40
	v_mul_f16_e32 v45, 0xb4f2, v40
	v_fmac_f16_e32 v122, 0x34f2, v125
	v_fmac_f16_e32 v123, 0x3b9c, v125
	v_fma_f16 v125, -0.5, v37, v101
	v_fmac_f16_e32 v46, 0xb4f2, v38
	v_fmac_f16_e32 v45, 0x3b9c, v38
	v_sub_f16_e32 v38, v109, v107
	v_sub_f16_e32 v37, v103, v105
	v_sub_f16_sdwa v39, v103, v105 dst_sel:DWORD dst_unused:UNUSED_PAD src0_sel:WORD_1 src1_sel:WORD_1
	v_sub_f16_sdwa v40, v109, v107 dst_sel:DWORD dst_unused:UNUSED_PAD src0_sel:WORD_1 src1_sel:WORD_1
	v_fmamk_f16 v127, v124, 0x3b9c, v120
	v_fmamk_f16 v128, v126, 0xbb9c, v125
	v_add_f16_e32 v130, v37, v38
	v_add_f16_e32 v43, v43, v114
	;; [unrolled: 1-line block ×3, first 2 shown]
	v_fmac_f16_e32 v127, 0x38b4, v44
	v_fmac_f16_e32 v128, 0xb8b4, v121
	v_add_f16_e32 v52, v52, v116
	v_fmamk_f16 v114, v56, 0xbb9c, v42
	v_fmamk_f16 v116, v113, 0x3b9c, v48
	v_fmac_f16_e32 v127, 0x34f2, v131
	v_fmac_f16_e32 v128, 0x34f2, v130
	v_pk_add_f16 v38, v101, v103
	v_fmac_f16_e32 v114, 0xb8b4, v41
	v_fmac_f16_e32 v116, 0x38b4, v50
	v_mul_f16_e32 v101, 0xb8b4, v127
	v_mul_f16_e32 v103, 0x38b4, v128
	v_pk_add_f16 v38, v38, v105
	v_fmac_f16_e32 v114, 0x34f2, v43
	v_fmac_f16_e32 v116, 0x34f2, v52
	;; [unrolled: 1-line block ×4, first 2 shown]
	v_pk_add_f16 v38, v38, v107
	v_add_f16_e32 v129, v54, v46
	v_add_f16_e32 v37, v117, v45
	;; [unrolled: 1-line block ×6, first 2 shown]
	v_fmac_f16_e32 v120, 0xbb9c, v124
	v_pk_add_f16 v109, v38, v109
	v_pack_b32_f16 v38, v129, v37
	v_pack_b32_f16 v37, v39, v40
	;; [unrolled: 1-line block ×3, first 2 shown]
	v_pk_add_f16 v105, v55, v51
	v_fmac_f16_e32 v125, 0x3b9c, v126
	v_fmac_f16_e32 v120, 0xb8b4, v44
	v_pk_add_f16 v39, v115, v109
	ds_write2_b64 v92, v[99:100], v[97:98] offset0:2 offset1:3
	ds_write_b64 v92, v[111:112] offset:32
	ds_write2_b64 v93, v[39:40], v[37:38] offset1:1
	v_pk_add_f16 v37, v105, v53
	v_fmac_f16_e32 v42, 0x3b9c, v56
	v_fmac_f16_e32 v48, 0xbb9c, v113
	;; [unrolled: 1-line block ×4, first 2 shown]
	v_pk_add_f16 v37, v37, v47
	v_pk_add_f16 v112, v102, v104
	v_fmac_f16_e32 v42, 0x38b4, v41
	v_fmac_f16_e32 v48, 0xb8b4, v50
	;; [unrolled: 1-line block ×3, first 2 shown]
	v_mul_f16_e32 v41, 0xb8b4, v120
	v_mul_f16_e32 v50, 0xba79, v120
	v_add_f16_e32 v38, v53, v47
	v_sub_f16_sdwa v39, v53, v47 dst_sel:DWORD dst_unused:UNUSED_PAD src0_sel:WORD_1 src1_sel:WORD_1
	v_sub_f16_e32 v40, v51, v53
	v_sub_f16_e32 v92, v53, v51
	v_add_f16_sdwa v97, v53, v47 dst_sel:DWORD dst_unused:UNUSED_PAD src0_sel:WORD_1 src1_sel:WORD_1
	v_sub_f16_e32 v98, v53, v47
	v_sub_f16_sdwa v99, v51, v53 dst_sel:DWORD dst_unused:UNUSED_PAD src0_sel:WORD_1 src1_sel:WORD_1
	v_sub_f16_sdwa v53, v53, v51 dst_sel:DWORD dst_unused:UNUSED_PAD src0_sel:WORD_1 src1_sel:WORD_1
	;; [unrolled: 1-line block ×3, first 2 shown]
	v_add_f16_e32 v105, v51, v49
	v_sub_f16_e32 v107, v51, v49
	v_add_f16_sdwa v51, v51, v49 dst_sel:DWORD dst_unused:UNUSED_PAD src0_sel:WORD_1 src1_sel:WORD_1
	v_sub_f16_e32 v111, v49, v47
	v_sub_f16_e32 v127, v47, v49
	v_sub_f16_sdwa v128, v49, v47 dst_sel:DWORD dst_unused:UNUSED_PAD src0_sel:WORD_1 src1_sel:WORD_1
	v_sub_f16_sdwa v47, v47, v49 dst_sel:DWORD dst_unused:UNUSED_PAD src0_sel:WORD_1 src1_sel:WORD_1
	v_pk_add_f16 v49, v37, v49
	v_pk_add_f16 v37, v112, v106
	v_fmac_f16_e32 v42, 0x34f2, v43
	v_fmac_f16_e32 v48, 0x34f2, v52
	;; [unrolled: 1-line block ×4, first 2 shown]
	v_pk_add_f16 v37, v37, v108
	v_sub_f16_e32 v46, v54, v46
	v_fma_f16 v54, -0.5, v38, v55
	v_add_f16_e32 v52, v42, v41
	v_sub_f16_e32 v42, v42, v41
	v_sub_f16_e32 v41, v116, v103
	v_add_f16_e32 v103, v48, v50
	v_sub_f16_e32 v48, v48, v50
	v_fma_f16 v50, -0.5, v105, v55
	v_lshrrev_b32_e32 v55, 16, v55
	v_add_f16_e32 v112, v106, v108
	v_sub_f16_sdwa v129, v106, v108 dst_sel:DWORD dst_unused:UNUSED_PAD src0_sel:WORD_1 src1_sel:WORD_1
	v_sub_f16_e32 v132, v104, v106
	v_sub_f16_e32 v133, v106, v104
	v_add_f16_sdwa v134, v106, v108 dst_sel:DWORD dst_unused:UNUSED_PAD src0_sel:WORD_1 src1_sel:WORD_1
	v_sub_f16_e32 v135, v106, v108
	v_sub_f16_sdwa v136, v104, v106 dst_sel:DWORD dst_unused:UNUSED_PAD src0_sel:WORD_1 src1_sel:WORD_1
	v_sub_f16_sdwa v106, v106, v104 dst_sel:DWORD dst_unused:UNUSED_PAD src0_sel:WORD_1 src1_sel:WORD_1
	;; [unrolled: 1-line block ×3, first 2 shown]
	v_add_f16_e32 v137, v104, v110
	v_sub_f16_e32 v138, v104, v110
	v_add_f16_sdwa v104, v104, v110 dst_sel:DWORD dst_unused:UNUSED_PAD src0_sel:WORD_1 src1_sel:WORD_1
	v_sub_f16_e32 v44, v110, v108
	v_sub_f16_e32 v56, v108, v110
	v_sub_f16_sdwa v113, v110, v108 dst_sel:DWORD dst_unused:UNUSED_PAD src0_sel:WORD_1 src1_sel:WORD_1
	v_sub_f16_sdwa v108, v108, v110 dst_sel:DWORD dst_unused:UNUSED_PAD src0_sel:WORD_1 src1_sel:WORD_1
	v_pk_add_f16 v110, v37, v110
	v_sub_f16_e32 v37, v114, v101
	v_fmamk_f16 v114, v100, 0xbb9c, v54
	v_fmac_f16_e32 v54, 0x3b9c, v100
	v_fma_f16 v97, -0.5, v97, v55
	v_add_f16_e32 v38, v40, v111
	v_fmac_f16_e32 v55, -0.5, v51
	v_fmac_f16_e32 v114, 0xb8b4, v39
	v_fmac_f16_e32 v54, 0x38b4, v39
	v_fmamk_f16 v51, v107, 0x3b9c, v97
	v_fmac_f16_e32 v97, 0xbb9c, v107
	v_fmamk_f16 v40, v39, 0x3b9c, v50
	v_fmac_f16_e32 v50, 0xbb9c, v39
	v_fmac_f16_e32 v114, 0x34f2, v38
	;; [unrolled: 1-line block ×3, first 2 shown]
	v_add_f16_e32 v38, v92, v127
	v_add_f16_e32 v39, v99, v128
	v_fmamk_f16 v92, v98, 0xbb9c, v55
	v_fmac_f16_e32 v55, 0x3b9c, v98
	v_fmac_f16_e32 v51, 0x38b4, v98
	;; [unrolled: 1-line block ×3, first 2 shown]
	v_add_f16_e32 v47, v53, v47
	v_fmac_f16_e32 v92, 0x38b4, v107
	v_fmac_f16_e32 v55, 0xb8b4, v107
	;; [unrolled: 1-line block ×4, first 2 shown]
	v_fma_f16 v39, -0.5, v112, v102
	v_fmac_f16_e32 v92, 0x34f2, v47
	v_fmac_f16_e32 v55, 0x34f2, v47
	v_lshrrev_b32_e32 v53, 16, v102
	v_fmac_f16_e32 v40, 0xb8b4, v100
	v_fmamk_f16 v47, v124, 0xbb9c, v39
	v_fmac_f16_e32 v39, 0x3b9c, v124
	v_fmac_f16_e32 v50, 0x38b4, v100
	v_add_f16_e32 v44, v132, v44
	v_fma_f16 v99, -0.5, v134, v53
	v_fmac_f16_e32 v47, 0xb8b4, v129
	v_fmac_f16_e32 v39, 0x38b4, v129
	v_fmac_f16_e32 v53, -0.5, v104
	v_fmac_f16_e32 v40, 0x34f2, v38
	v_fmac_f16_e32 v50, 0x34f2, v38
	v_fma_f16 v38, -0.5, v137, v102
	v_fmac_f16_e32 v47, 0x34f2, v44
	v_fmamk_f16 v100, v138, 0x3b9c, v99
	v_fmac_f16_e32 v39, 0x34f2, v44
	v_fmamk_f16 v44, v135, 0xbb9c, v53
	v_fmamk_f16 v98, v129, 0x3b9c, v38
	v_fmac_f16_e32 v38, 0xbb9c, v129
	v_add_f16_e32 v102, v136, v113
	v_fmac_f16_e32 v100, 0x38b4, v135
	v_fmac_f16_e32 v99, 0xbb9c, v138
	v_add_f16_e32 v104, v106, v108
	v_fmac_f16_e32 v44, 0x38b4, v138
	;; [unrolled: 3-line block ×3, first 2 shown]
	v_fmac_f16_e32 v38, 0x38b4, v124
	v_fmac_f16_e32 v100, 0x34f2, v102
	;; [unrolled: 1-line block ×7, first 2 shown]
	v_mul_f16_e32 v56, 0xb8b4, v100
	v_fmac_f16_e32 v99, 0x34f2, v102
	v_mul_f16_e32 v105, 0xbb9c, v44
	v_fmac_f16_e32 v53, 0x34f2, v104
	v_mul_f16_e32 v44, 0x34f2, v44
	v_mul_f16_e32 v102, 0x38b4, v47
	v_fmac_f16_e32 v56, 0x3a79, v47
	v_fmac_f16_e32 v105, 0x34f2, v98
	v_mul_f16_e32 v47, 0xbb9c, v53
	v_mul_f16_e32 v53, 0xb4f2, v53
	v_fmac_f16_e32 v44, 0x3b9c, v98
	v_mul_f16_e32 v98, 0xb8b4, v99
	v_mul_f16_e32 v99, 0xba79, v99
	v_sub_f16_e32 v43, v118, v122
	v_sub_f16_e32 v101, v119, v123
	v_fmac_f16_e32 v102, 0x3a79, v100
	v_fmac_f16_e32 v47, 0xb4f2, v38
	;; [unrolled: 1-line block ×5, first 2 shown]
	v_sub_f16_e32 v45, v117, v45
	v_add_f16_e32 v100, v114, v56
	v_add_f16_e32 v104, v40, v105
	v_sub_f16_e32 v105, v40, v105
	v_add_f16_e32 v106, v50, v47
	v_sub_f16_e32 v107, v50, v47
	v_add_f16_e32 v47, v54, v98
	v_pack_b32_f16 v40, v43, v101
	v_sub_f16_e32 v54, v54, v98
	v_add_f16_e32 v50, v51, v102
	v_add_f16_e32 v98, v92, v44
	;; [unrolled: 1-line block ×3, first 2 shown]
	v_sub_f16_e32 v56, v114, v56
	v_sub_f16_e32 v51, v51, v102
	;; [unrolled: 1-line block ×4, first 2 shown]
	v_add_f16_e32 v55, v97, v99
	v_sub_f16_e32 v97, v97, v99
	v_pk_add_f16 v38, v115, v109 neg_lo:[0,1] neg_hi:[0,1]
	v_pack_b32_f16 v39, v37, v41
	v_pack_b32_f16 v37, v52, v103
	;; [unrolled: 1-line block ×4, first 2 shown]
	v_pk_add_f16 v41, v49, v110
	v_pack_b32_f16 v46, v106, v101
	v_pack_b32_f16 v45, v104, v98
	;; [unrolled: 1-line block ×3, first 2 shown]
	v_pk_add_f16 v48, v49, v110 neg_lo:[0,1] neg_hi:[0,1]
	v_pack_b32_f16 v50, v105, v92
	v_pack_b32_f16 v49, v56, v51
	;; [unrolled: 1-line block ×5, first 2 shown]
	ds_write2_b64 v93, v[37:38], v[39:40] offset0:2 offset1:3
	ds_write_b64 v93, v[43:44] offset:32
	ds_write2_b64 v94, v[41:42], v[45:46] offset1:1
	ds_write2_b64 v94, v[47:48], v[49:50] offset0:2 offset1:3
	ds_write_b64 v94, v[51:52] offset:32
	s_waitcnt lgkmcnt(0)
	s_barrier
	buffer_gl0_inv
	ds_read2_b32 v[37:38], v71 offset0:30 offset1:35
	ds_read2_b32 v[39:40], v71 offset0:60 offset1:65
	;; [unrolled: 1-line block ×10, first 2 shown]
	s_waitcnt lgkmcnt(9)
	v_lshrrev_b32_e32 v41, 16, v37
	s_waitcnt lgkmcnt(8)
	v_lshrrev_b32_e32 v46, 16, v39
	v_mul_f16_sdwa v51, v4, v37 dst_sel:DWORD dst_unused:UNUSED_PAD src0_sel:WORD_1 src1_sel:DWORD
	s_waitcnt lgkmcnt(6)
	v_lshrrev_b32_e32 v48, 16, v44
	s_waitcnt lgkmcnt(5)
	v_lshrrev_b32_e32 v49, 16, v55
	v_mul_f16_sdwa v99, v4, v41 dst_sel:DWORD dst_unused:UNUSED_PAD src0_sel:WORD_1 src1_sel:DWORD
	v_mul_f16_sdwa v102, v5, v46 dst_sel:DWORD dst_unused:UNUSED_PAD src0_sel:WORD_1 src1_sel:DWORD
	v_lshrrev_b32_e32 v47, 16, v42
	s_waitcnt lgkmcnt(4)
	v_lshrrev_b32_e32 v50, 16, v92
	s_waitcnt lgkmcnt(2)
	v_lshrrev_b32_e32 v94, 16, v115
	v_fmac_f16_e32 v99, v4, v37
	v_mul_f16_sdwa v37, v5, v39 dst_sel:DWORD dst_unused:UNUSED_PAD src0_sel:WORD_1 src1_sel:DWORD
	v_fmac_f16_e32 v102, v5, v39
	v_mul_f16_sdwa v39, v4, v55 dst_sel:DWORD dst_unused:UNUSED_PAD src0_sel:WORD_1 src1_sel:DWORD
	v_fma_f16 v98, v4, v41, -v51
	v_mul_f16_sdwa v41, v6, v42 dst_sel:DWORD dst_unused:UNUSED_PAD src0_sel:WORD_1 src1_sel:DWORD
	v_fma_f16 v100, v5, v46, -v37
	;; [unrolled: 2-line block ×3, first 2 shown]
	v_mul_f16_sdwa v39, v7, v115 dst_sel:DWORD dst_unused:UNUSED_PAD src0_sel:WORD_1 src1_sel:DWORD
	v_lshrrev_b32_e32 v54, 16, v113
	v_fma_f16 v101, v6, v47, -v41
	v_fma_f16 v105, v7, v48, -v37
	v_mul_f16_sdwa v37, v5, v92 dst_sel:DWORD dst_unused:UNUSED_PAD src0_sel:WORD_1 src1_sel:DWORD
	v_mul_f16_sdwa v104, v7, v48 dst_sel:DWORD dst_unused:UNUSED_PAD src0_sel:WORD_1 src1_sel:DWORD
	;; [unrolled: 1-line block ×5, first 2 shown]
	v_fma_f16 v49, v5, v50, -v37
	v_fma_f16 v50, v7, v94, -v39
	v_mul_f16_sdwa v94, v7, v94 dst_sel:DWORD dst_unused:UNUSED_PAD src0_sel:WORD_1 src1_sel:DWORD
	v_lshrrev_b32_e32 v52, 16, v38
	v_mul_f16_sdwa v103, v6, v47 dst_sel:DWORD dst_unused:UNUSED_PAD src0_sel:WORD_1 src1_sel:DWORD
	v_fma_f16 v48, v6, v54, -v41
	v_mul_f16_sdwa v54, v6, v54 dst_sel:DWORD dst_unused:UNUSED_PAD src0_sel:WORD_1 src1_sel:DWORD
	v_fmac_f16_e32 v104, v7, v44
	v_lshrrev_b32_e32 v37, 16, v40
	v_fmac_f16_e32 v94, v7, v115
	v_mul_f16_sdwa v7, v1, v40 dst_sel:DWORD dst_unused:UNUSED_PAD src0_sel:WORD_1 src1_sel:DWORD
	v_fmac_f16_e32 v103, v6, v42
	v_mul_f16_sdwa v106, v0, v52 dst_sel:DWORD dst_unused:UNUSED_PAD src0_sel:WORD_1 src1_sel:DWORD
	v_fmac_f16_e32 v54, v6, v113
	v_lshrrev_b32_e32 v6, 16, v45
	v_fma_f16 v110, v1, v37, -v7
	v_mul_f16_sdwa v7, v3, v45 dst_sel:DWORD dst_unused:UNUSED_PAD src0_sel:WORD_1 src1_sel:DWORD
	v_fmac_f16_e32 v51, v4, v55
	v_fmac_f16_e32 v53, v5, v92
	v_mul_f16_sdwa v107, v1, v37 dst_sel:DWORD dst_unused:UNUSED_PAD src0_sel:WORD_1 src1_sel:DWORD
	v_lshrrev_b32_e32 v4, 16, v43
	v_fmac_f16_e32 v106, v0, v38
	v_mul_f16_sdwa v5, v0, v38 dst_sel:DWORD dst_unused:UNUSED_PAD src0_sel:WORD_1 src1_sel:DWORD
	v_lshrrev_b32_e32 v38, 16, v56
	v_mul_f16_sdwa v111, v3, v6 dst_sel:DWORD dst_unused:UNUSED_PAD src0_sel:WORD_1 src1_sel:DWORD
	v_fma_f16 v113, v3, v6, -v7
	ds_read2_b32 v[6:7], v71 offset0:110 offset1:115
	v_fmac_f16_e32 v107, v1, v40
	v_mul_f16_sdwa v108, v2, v4 dst_sel:DWORD dst_unused:UNUSED_PAD src0_sel:WORD_1 src1_sel:DWORD
	v_fma_f16 v109, v0, v52, -v5
	v_mul_f16_sdwa v42, v0, v38 dst_sel:DWORD dst_unused:UNUSED_PAD src0_sel:WORD_1 src1_sel:DWORD
	v_mul_f16_sdwa v5, v2, v43 dst_sel:DWORD dst_unused:UNUSED_PAD src0_sel:WORD_1 src1_sel:DWORD
	v_lshrrev_b32_e32 v37, 16, v93
	v_mul_f16_sdwa v39, v0, v56 dst_sel:DWORD dst_unused:UNUSED_PAD src0_sel:WORD_1 src1_sel:DWORD
	v_lshrrev_b32_e32 v40, 16, v114
	v_fmac_f16_e32 v108, v2, v43
	v_fmac_f16_e32 v111, v3, v45
	;; [unrolled: 1-line block ×3, first 2 shown]
	v_fma_f16 v112, v2, v4, -v5
	v_mul_f16_sdwa v45, v1, v37 dst_sel:DWORD dst_unused:UNUSED_PAD src0_sel:WORD_1 src1_sel:DWORD
	v_mul_f16_sdwa v41, v1, v93 dst_sel:DWORD dst_unused:UNUSED_PAD src0_sel:WORD_1 src1_sel:DWORD
	v_lshrrev_b32_e32 v43, 16, v116
	ds_read2_b32 v[4:5], v71 offset0:140 offset1:145
	v_fma_f16 v52, v0, v38, -v39
	v_mul_f16_sdwa v92, v2, v40 dst_sel:DWORD dst_unused:UNUSED_PAD src0_sel:WORD_1 src1_sel:DWORD
	v_mul_f16_sdwa v0, v2, v114 dst_sel:DWORD dst_unused:UNUSED_PAD src0_sel:WORD_1 src1_sel:DWORD
	v_fmac_f16_e32 v45, v1, v93
	v_mul_f16_sdwa v97, v3, v43 dst_sel:DWORD dst_unused:UNUSED_PAD src0_sel:WORD_1 src1_sel:DWORD
	v_fma_f16 v55, v1, v37, -v41
	v_fmac_f16_e32 v92, v2, v114
	v_mul_f16_sdwa v1, v3, v116 dst_sel:DWORD dst_unused:UNUSED_PAD src0_sel:WORD_1 src1_sel:DWORD
	v_fma_f16 v56, v2, v40, -v0
	s_waitcnt lgkmcnt(3)
	v_lshrrev_b32_e32 v0, 16, v117
	v_mul_f16_sdwa v2, v12, v117 dst_sel:DWORD dst_unused:UNUSED_PAD src0_sel:WORD_1 src1_sel:DWORD
	v_fmac_f16_e32 v97, v3, v116
	v_fma_f16 v93, v3, v43, -v1
	s_waitcnt lgkmcnt(2)
	v_lshrrev_b32_e32 v1, 16, v119
	v_mul_f16_sdwa v3, v13, v119 dst_sel:DWORD dst_unused:UNUSED_PAD src0_sel:WORD_1 src1_sel:DWORD
	v_mul_f16_sdwa v40, v12, v0 dst_sel:DWORD dst_unused:UNUSED_PAD src0_sel:WORD_1 src1_sel:DWORD
	v_fma_f16 v37, v12, v0, -v2
	s_waitcnt lgkmcnt(1)
	v_lshrrev_b32_e32 v2, 16, v6
	v_mul_f16_sdwa v0, v14, v6 dst_sel:DWORD dst_unused:UNUSED_PAD src0_sel:WORD_1 src1_sel:DWORD
	v_mul_f16_sdwa v41, v13, v1 dst_sel:DWORD dst_unused:UNUSED_PAD src0_sel:WORD_1 src1_sel:DWORD
	v_fma_f16 v39, v13, v1, -v3
	s_waitcnt lgkmcnt(0)
	v_lshrrev_b32_e32 v47, 16, v4
	v_mul_f16_sdwa v43, v15, v4 dst_sel:DWORD dst_unused:UNUSED_PAD src0_sel:WORD_1 src1_sel:DWORD
	v_fma_f16 v38, v14, v2, -v0
	ds_read2_b32 v[0:1], v71 offset1:5
	v_mul_f16_sdwa v44, v14, v2 dst_sel:DWORD dst_unused:UNUSED_PAD src0_sel:WORD_1 src1_sel:DWORD
	v_lshrrev_b32_e32 v3, 16, v118
	v_fma_f16 v43, v15, v47, -v43
	v_mul_f16_sdwa v47, v15, v47 dst_sel:DWORD dst_unused:UNUSED_PAD src0_sel:WORD_1 src1_sel:DWORD
	v_fmac_f16_e32 v41, v13, v119
	v_lshrrev_b32_e32 v2, 16, v120
	v_mul_f16_sdwa v13, v8, v3 dst_sel:DWORD dst_unused:UNUSED_PAD src0_sel:WORD_1 src1_sel:DWORD
	v_fmac_f16_e32 v44, v14, v6
	v_fmac_f16_e32 v47, v15, v4
	v_lshrrev_b32_e32 v4, 16, v7
	v_fmac_f16_e32 v40, v12, v117
	v_mul_f16_sdwa v12, v9, v2 dst_sel:DWORD dst_unused:UNUSED_PAD src0_sel:WORD_1 src1_sel:DWORD
	v_fmac_f16_e32 v13, v8, v118
	v_mul_f16_sdwa v114, v8, v118 dst_sel:DWORD dst_unused:UNUSED_PAD src0_sel:WORD_1 src1_sel:DWORD
	v_mul_f16_sdwa v14, v10, v4 dst_sel:DWORD dst_unused:UNUSED_PAD src0_sel:WORD_1 src1_sel:DWORD
	;; [unrolled: 1-line block ×3, first 2 shown]
	v_lshrrev_b32_e32 v115, 16, v5
	v_fmac_f16_e32 v12, v9, v120
	v_mul_f16_sdwa v116, v9, v120 dst_sel:DWORD dst_unused:UNUSED_PAD src0_sel:WORD_1 src1_sel:DWORD
	s_waitcnt lgkmcnt(0)
	v_lshrrev_b32_e32 v6, 16, v0
	v_fmac_f16_e32 v14, v10, v7
	v_lshrrev_b32_e32 v117, 16, v1
	v_add_f16_e32 v7, v0, v99
	v_add_f16_e32 v120, v1, v106
	;; [unrolled: 1-line block ×3, first 2 shown]
	v_mul_f16_sdwa v15, v11, v115 dst_sel:DWORD dst_unused:UNUSED_PAD src0_sel:WORD_1 src1_sel:DWORD
	v_add_f16_e32 v121, v117, v109
	v_add_f16_e32 v7, v7, v102
	;; [unrolled: 1-line block ×4, first 2 shown]
	v_fmac_f16_e32 v15, v11, v5
	v_add_f16_e32 v121, v121, v110
	v_add_f16_e32 v122, v7, v103
	v_mul_f16_sdwa v5, v11, v5 dst_sel:DWORD dst_unused:UNUSED_PAD src0_sel:WORD_1 src1_sel:DWORD
	v_add_f16_e32 v119, v119, v101
	v_add_f16_e32 v120, v120, v108
	;; [unrolled: 1-line block ×3, first 2 shown]
	v_fma_f16 v7, v8, v3, -v114
	v_add_f16_e32 v3, v122, v104
	v_add_f16_e32 v119, v119, v105
	;; [unrolled: 1-line block ×4, first 2 shown]
	v_fma_f16 v114, v9, v2, -v116
	v_fma_f16 v8, v10, v4, -v118
	;; [unrolled: 1-line block ×3, first 2 shown]
	v_pack_b32_f16 v11, v3, v119
	v_sub_f16_e32 v10, v99, v102
	v_sub_f16_e32 v116, v104, v103
	;; [unrolled: 1-line block ×4, first 2 shown]
	v_pack_b32_f16 v115, v120, v121
	v_add_f16_e32 v120, v102, v103
	v_add_f16_e32 v116, v10, v116
	v_sub_f16_e32 v10, v106, v107
	v_add_f16_e32 v118, v118, v119
	v_sub_f16_e32 v119, v111, v108
	v_sub_f16_e32 v121, v109, v110
	;; [unrolled: 1-line block ×3, first 2 shown]
	v_add_f16_e32 v123, v100, v101
	v_add_f16_e32 v124, v107, v108
	;; [unrolled: 1-line block ×3, first 2 shown]
	v_sub_f16_e32 v129, v109, v113
	v_sub_f16_e32 v131, v106, v111
	;; [unrolled: 1-line block ×4, first 2 shown]
	v_add_f16_e32 v136, v106, v111
	v_add_f16_e32 v137, v109, v113
	v_sub_f16_e32 v106, v107, v106
	v_sub_f16_e32 v107, v108, v111
	;; [unrolled: 1-line block ×4, first 2 shown]
	v_add_f16_e32 v112, v99, v104
	ds_read2_b32 v[4:5], v71 offset0:10 offset1:15
	ds_read2_b32 v[2:3], v71 offset0:20 offset1:25
	s_waitcnt lgkmcnt(0)
	s_barrier
	buffer_gl0_inv
	v_add_f16_e32 v119, v10, v119
	v_fma_f16 v10, -0.5, v120, v0
	v_sub_f16_e32 v120, v98, v105
	v_add_f16_e32 v121, v121, v122
	v_fma_f16 v122, -0.5, v123, v6
	v_sub_f16_e32 v123, v99, v104
	v_sub_f16_e32 v126, v100, v101
	v_fma_f16 v124, -0.5, v124, v1
	v_sub_f16_e32 v130, v102, v103
	v_fma_f16 v127, -0.5, v127, v117
	ds_write2_b32 v71, v11, v115 offset1:5
	v_fma_f16 v0, -0.5, v112, v0
	v_sub_f16_e32 v11, v102, v99
	v_sub_f16_e32 v99, v103, v104
	v_add_f16_e32 v103, v98, v105
	v_fmamk_f16 v125, v120, 0xbb9c, v10
	v_fmamk_f16 v128, v123, 0x3b9c, v122
	;; [unrolled: 1-line block ×5, first 2 shown]
	v_fmac_f16_e32 v0, 0xbb9c, v126
	v_fmac_f16_e32 v6, -0.5, v103
	v_fmac_f16_e32 v125, 0xb8b4, v126
	v_fmac_f16_e32 v128, 0x38b4, v130
	;; [unrolled: 1-line block ×4, first 2 shown]
	v_fmac_f16_e32 v1, -0.5, v136
	v_add_f16_e32 v11, v11, v99
	v_fmac_f16_e32 v102, 0xb8b4, v120
	v_fmac_f16_e32 v0, 0x38b4, v120
	v_sub_f16_e32 v98, v100, v98
	v_sub_f16_e32 v99, v101, v105
	v_fmamk_f16 v100, v130, 0xbb9c, v6
	v_fmac_f16_e32 v6, 0x3b9c, v130
	v_fmac_f16_e32 v125, 0x34f2, v116
	;; [unrolled: 1-line block ×4, first 2 shown]
	v_fmamk_f16 v110, v133, 0x3b9c, v1
	v_fmac_f16_e32 v1, 0xbb9c, v133
	v_fmac_f16_e32 v134, 0x34f2, v121
	;; [unrolled: 1-line block ×4, first 2 shown]
	v_add_f16_e32 v11, v98, v99
	v_fmac_f16_e32 v100, 0x38b4, v123
	v_fmac_f16_e32 v6, 0xb8b4, v123
	v_add_f16_e32 v98, v53, v54
	v_sub_f16_e32 v99, v51, v53
	v_sub_f16_e32 v101, v94, v54
	v_add_f16_e32 v104, v51, v94
	v_add_f16_e32 v106, v106, v107
	v_fmac_f16_e32 v1, 0x38b4, v129
	v_add_f16_e32 v107, v108, v109
	v_pack_b32_f16 v108, v125, v128
	v_pack_b32_f16 v109, v132, v134
	v_fmac_f16_e32 v110, 0xb8b4, v129
	v_fmac_f16_e32 v100, 0x34f2, v11
	;; [unrolled: 1-line block ×3, first 2 shown]
	v_fma_f16 v11, -0.5, v98, v4
	v_sub_f16_e32 v98, v46, v50
	v_sub_f16_e32 v105, v49, v48
	v_add_f16_e32 v99, v99, v101
	v_fma_f16 v101, -0.5, v104, v4
	v_fmac_f16_e32 v1, 0x34f2, v106
	ds_write2_b32 v71, v108, v109 offset0:10 offset1:15
	v_fmac_f16_e32 v110, 0x34f2, v106
	v_fmamk_f16 v103, v98, 0xbb9c, v11
	v_fmac_f16_e32 v11, 0x3b9c, v98
	v_sub_f16_e32 v104, v53, v51
	v_sub_f16_e32 v106, v54, v94
	v_add_f16_e32 v108, v4, v51
	v_fmamk_f16 v109, v105, 0x3b9c, v101
	v_fmac_f16_e32 v101, 0xbb9c, v105
	v_fmac_f16_e32 v103, 0xb8b4, v105
	;; [unrolled: 1-line block ×3, first 2 shown]
	v_add_f16_e32 v104, v104, v106
	v_add_f16_e32 v105, v108, v53
	v_fmac_f16_e32 v109, 0xb8b4, v98
	v_fmac_f16_e32 v101, 0x38b4, v98
	v_lshrrev_b32_e32 v4, 16, v4
	v_fmac_f16_e32 v103, 0x34f2, v99
	v_add_f16_e32 v98, v105, v54
	v_fmac_f16_e32 v11, 0x34f2, v99
	v_fmac_f16_e32 v109, 0x34f2, v104
	;; [unrolled: 1-line block ×3, first 2 shown]
	v_add_f16_e32 v99, v4, v46
	v_add_f16_e32 v104, v49, v48
	;; [unrolled: 1-line block ×3, first 2 shown]
	v_sub_f16_e32 v51, v51, v94
	v_sub_f16_e32 v94, v46, v49
	;; [unrolled: 1-line block ×3, first 2 shown]
	v_add_f16_e32 v99, v99, v49
	v_fma_f16 v104, -0.5, v104, v4
	v_sub_f16_e32 v53, v53, v54
	v_add_f16_e32 v54, v46, v50
	v_fmac_f16_e32 v117, -0.5, v137
	v_add_f16_e32 v94, v94, v105
	v_add_f16_e32 v99, v99, v48
	v_fmamk_f16 v105, v51, 0x3b9c, v104
	v_fmac_f16_e32 v104, 0xbb9c, v51
	v_fmac_f16_e32 v4, -0.5, v54
	v_fmamk_f16 v111, v135, 0xbb9c, v117
	v_fmac_f16_e32 v117, 0x3b9c, v135
	v_sub_f16_e32 v46, v49, v46
	v_add_f16_e32 v49, v99, v50
	v_fmac_f16_e32 v105, 0x38b4, v53
	v_fmac_f16_e32 v104, 0xb8b4, v53
	v_sub_f16_e32 v48, v48, v50
	v_fmamk_f16 v50, v53, 0xbb9c, v4
	v_fmac_f16_e32 v4, 0x3b9c, v53
	v_add_f16_e32 v53, v45, v92
	v_fmac_f16_e32 v117, 0xb8b4, v131
	v_fmac_f16_e32 v111, 0x38b4, v131
	;; [unrolled: 1-line block ×4, first 2 shown]
	v_fma_f16 v51, -0.5, v53, v5
	v_add_f16_e32 v53, v42, v97
	v_sub_f16_e32 v54, v52, v93
	v_fmac_f16_e32 v117, 0x34f2, v107
	v_fmac_f16_e32 v111, 0x34f2, v107
	;; [unrolled: 1-line block ×4, first 2 shown]
	v_add_f16_e32 v46, v46, v48
	v_sub_f16_e32 v48, v42, v45
	v_sub_f16_e32 v94, v97, v92
	v_lshrrev_b32_e32 v99, 16, v5
	v_add_f16_e32 v106, v5, v42
	v_fmac_f16_e32 v5, -0.5, v53
	v_fmamk_f16 v53, v54, 0xbb9c, v51
	v_sub_f16_e32 v107, v55, v56
	v_fmac_f16_e32 v51, 0x3b9c, v54
	v_add_f16_e32 v48, v48, v94
	v_sub_f16_e32 v94, v45, v42
	v_sub_f16_e32 v108, v92, v97
	v_fmac_f16_e32 v53, 0xb8b4, v107
	v_fmamk_f16 v112, v107, 0x3b9c, v5
	v_fmac_f16_e32 v5, 0xbb9c, v107
	v_fmac_f16_e32 v51, 0x38b4, v107
	v_add_f16_e32 v106, v106, v45
	v_add_f16_e32 v94, v94, v108
	v_fmac_f16_e32 v112, 0xb8b4, v54
	v_fmac_f16_e32 v5, 0x38b4, v54
	;; [unrolled: 1-line block ×4, first 2 shown]
	v_add_f16_e32 v46, v106, v92
	v_fmac_f16_e32 v53, 0x34f2, v48
	v_fmac_f16_e32 v51, 0x34f2, v48
	v_add_f16_e32 v48, v99, v52
	v_add_f16_e32 v54, v55, v56
	v_fmac_f16_e32 v112, 0x34f2, v94
	v_fmac_f16_e32 v5, 0x34f2, v94
	v_add_f16_e32 v46, v46, v97
	v_sub_f16_e32 v42, v42, v97
	v_sub_f16_e32 v94, v52, v55
	;; [unrolled: 1-line block ×3, first 2 shown]
	v_add_f16_e32 v48, v48, v55
	v_fma_f16 v54, -0.5, v54, v99
	v_add_f16_e32 v106, v52, v93
	v_sub_f16_e32 v45, v45, v92
	v_add_f16_e32 v92, v94, v97
	v_add_f16_e32 v48, v48, v56
	v_fmamk_f16 v94, v42, 0x3b9c, v54
	v_fmac_f16_e32 v54, 0xbb9c, v42
	v_fmac_f16_e32 v99, -0.5, v106
	v_sub_f16_e32 v52, v55, v52
	v_add_f16_e32 v48, v48, v93
	v_sub_f16_e32 v55, v56, v93
	v_fmac_f16_e32 v94, 0x38b4, v45
	v_fmac_f16_e32 v54, 0xb8b4, v45
	v_add_f16_e32 v93, v41, v44
	v_fmamk_f16 v56, v45, 0xbb9c, v99
	v_fmac_f16_e32 v99, 0x3b9c, v45
	v_fmac_f16_e32 v94, 0x34f2, v92
	;; [unrolled: 1-line block ×3, first 2 shown]
	v_add_f16_e32 v45, v52, v55
	v_fma_f16 v52, -0.5, v93, v2
	v_sub_f16_e32 v55, v37, v43
	v_sub_f16_e32 v92, v40, v41
	v_add_f16_e32 v93, v40, v47
	v_sub_f16_e32 v97, v47, v44
	v_fmac_f16_e32 v56, 0x38b4, v42
	v_fmamk_f16 v106, v55, 0xbb9c, v52
	v_sub_f16_e32 v107, v39, v38
	v_fmac_f16_e32 v99, 0xb8b4, v42
	v_fmac_f16_e32 v52, 0x3b9c, v55
	v_fma_f16 v42, -0.5, v93, v2
	v_add_f16_e32 v92, v92, v97
	v_sub_f16_e32 v93, v41, v40
	v_sub_f16_e32 v97, v44, v47
	v_add_f16_e32 v108, v2, v40
	v_fmac_f16_e32 v106, 0xb8b4, v107
	v_fmamk_f16 v113, v107, 0x3b9c, v42
	v_fmac_f16_e32 v42, 0xbb9c, v107
	v_fmac_f16_e32 v52, 0x38b4, v107
	v_add_f16_e32 v93, v93, v97
	v_add_f16_e32 v97, v108, v41
	v_lshrrev_b32_e32 v2, 16, v2
	v_fmac_f16_e32 v113, 0xb8b4, v55
	v_fmac_f16_e32 v42, 0x38b4, v55
	;; [unrolled: 1-line block ×4, first 2 shown]
	v_add_f16_e32 v45, v97, v44
	v_fmac_f16_e32 v106, 0x34f2, v92
	v_fmac_f16_e32 v52, 0x34f2, v92
	v_add_f16_e32 v92, v39, v38
	v_add_f16_e32 v55, v2, v37
	v_fmac_f16_e32 v113, 0x34f2, v93
	v_fmac_f16_e32 v42, 0x34f2, v93
	v_add_f16_e32 v45, v45, v47
	v_sub_f16_e32 v40, v40, v47
	v_sub_f16_e32 v47, v37, v39
	;; [unrolled: 1-line block ×3, first 2 shown]
	v_fma_f16 v92, -0.5, v92, v2
	v_add_f16_e32 v55, v55, v39
	v_sub_f16_e32 v41, v41, v44
	v_add_f16_e32 v44, v37, v43
	v_add_f16_e32 v47, v47, v93
	v_fmamk_f16 v93, v40, 0x3b9c, v92
	v_fmac_f16_e32 v92, 0xbb9c, v40
	v_add_f16_e32 v55, v55, v38
	v_fmac_f16_e32 v2, -0.5, v44
	v_sub_f16_e32 v37, v39, v37
	v_sub_f16_e32 v38, v38, v43
	v_fmac_f16_e32 v93, 0x38b4, v41
	v_fmac_f16_e32 v92, 0xb8b4, v41
	v_add_f16_e32 v39, v55, v43
	v_fmamk_f16 v43, v41, 0xbb9c, v2
	v_fmac_f16_e32 v2, 0x3b9c, v41
	v_add_f16_e32 v37, v37, v38
	v_add_f16_e32 v38, v12, v14
	v_fmac_f16_e32 v93, 0x34f2, v47
	v_fmac_f16_e32 v92, 0x34f2, v47
	v_sub_f16_e32 v41, v13, v12
	v_sub_f16_e32 v44, v15, v14
	v_add_f16_e32 v47, v13, v15
	v_fmac_f16_e32 v43, 0x38b4, v40
	v_fmac_f16_e32 v2, 0xb8b4, v40
	v_fma_f16 v38, -0.5, v38, v3
	v_sub_f16_e32 v40, v7, v9
	v_add_f16_e32 v41, v41, v44
	v_lshrrev_b32_e32 v44, 16, v3
	v_add_f16_e32 v55, v3, v13
	v_sub_f16_e32 v107, v114, v8
	v_fmac_f16_e32 v3, -0.5, v47
	v_fmamk_f16 v97, v40, 0xbb9c, v38
	v_fmac_f16_e32 v38, 0x3b9c, v40
	v_sub_f16_e32 v47, v12, v13
	v_sub_f16_e32 v108, v14, v15
	v_fmamk_f16 v115, v107, 0x3b9c, v3
	v_fmac_f16_e32 v3, 0xbb9c, v107
	v_fmac_f16_e32 v97, 0xb8b4, v107
	;; [unrolled: 1-line block ×3, first 2 shown]
	v_add_f16_e32 v55, v55, v12
	v_fmac_f16_e32 v115, 0xb8b4, v40
	v_fmac_f16_e32 v3, 0x38b4, v40
	v_add_f16_e32 v40, v44, v7
	v_fmac_f16_e32 v10, 0x3b9c, v120
	v_fmac_f16_e32 v122, 0xbb9c, v123
	;; [unrolled: 1-line block ×4, first 2 shown]
	v_add_f16_e32 v47, v47, v108
	v_fmac_f16_e32 v43, 0x34f2, v37
	v_fmac_f16_e32 v2, 0x34f2, v37
	v_add_f16_e32 v37, v55, v14
	v_fmac_f16_e32 v97, 0x34f2, v41
	v_fmac_f16_e32 v38, 0x34f2, v41
	v_add_f16_e32 v41, v114, v8
	v_add_f16_e32 v40, v40, v114
	v_sub_f16_e32 v12, v12, v14
	v_add_f16_e32 v14, v7, v9
	v_fmac_f16_e32 v10, 0x38b4, v126
	v_fmac_f16_e32 v122, 0xb8b4, v130
	v_fmac_f16_e32 v124, 0x38b4, v133
	v_fmac_f16_e32 v127, 0xb8b4, v135
	v_fmac_f16_e32 v115, 0x34f2, v47
	v_fmac_f16_e32 v3, 0x34f2, v47
	v_add_f16_e32 v37, v37, v15
	v_sub_f16_e32 v13, v13, v15
	v_sub_f16_e32 v15, v7, v114
	;; [unrolled: 1-line block ×3, first 2 shown]
	v_fma_f16 v41, -0.5, v41, v44
	v_add_f16_e32 v40, v40, v8
	v_sub_f16_e32 v7, v114, v7
	v_sub_f16_e32 v8, v8, v9
	v_fmac_f16_e32 v44, -0.5, v14
	v_fmac_f16_e32 v10, 0x34f2, v116
	v_fmac_f16_e32 v122, 0x34f2, v118
	;; [unrolled: 1-line block ×4, first 2 shown]
	v_add_f16_e32 v15, v15, v47
	v_fmamk_f16 v47, v13, 0x3b9c, v41
	v_fmac_f16_e32 v41, 0xbb9c, v13
	v_add_f16_e32 v7, v7, v8
	v_pack_b32_f16 v8, v102, v100
	v_pack_b32_f16 v0, v0, v6
	;; [unrolled: 1-line block ×4, first 2 shown]
	v_add_f16_e32 v14, v40, v9
	v_fmamk_f16 v9, v12, 0xbb9c, v44
	v_fmac_f16_e32 v44, 0x3b9c, v12
	v_fmac_f16_e32 v47, 0x38b4, v12
	;; [unrolled: 1-line block ×3, first 2 shown]
	v_pack_b32_f16 v10, v10, v122
	v_pack_b32_f16 v12, v124, v127
	ds_write2_b32 v71, v8, v6 offset0:20 offset1:25
	ds_write2_b32 v71, v0, v1 offset0:30 offset1:35
	;; [unrolled: 1-line block ×3, first 2 shown]
	v_pack_b32_f16 v0, v98, v49
	v_pack_b32_f16 v1, v46, v48
	v_fmac_f16_e32 v9, 0x38b4, v13
	v_fmac_f16_e32 v44, 0xb8b4, v13
	v_pack_b32_f16 v6, v103, v105
	v_fmac_f16_e32 v47, 0x34f2, v15
	ds_write2_b32 v71, v0, v1 offset0:50 offset1:55
	v_pack_b32_f16 v0, v53, v94
	v_fmac_f16_e32 v9, 0x34f2, v7
	v_fmac_f16_e32 v44, 0x34f2, v7
	v_pack_b32_f16 v7, v109, v50
	v_pack_b32_f16 v1, v112, v56
	;; [unrolled: 1-line block ×6, first 2 shown]
	v_fmac_f16_e32 v41, 0x34f2, v15
	v_pack_b32_f16 v11, v45, v39
	v_pack_b32_f16 v12, v106, v93
	ds_write2_b32 v71, v6, v0 offset0:60 offset1:65
	ds_write2_b32 v71, v7, v1 offset0:70 offset1:75
	;; [unrolled: 1-line block ×5, first 2 shown]
	v_pack_b32_f16 v0, v113, v43
	v_pack_b32_f16 v1, v42, v2
	;; [unrolled: 1-line block ×8, first 2 shown]
	ds_write2_b32 v95, v0, v1 offset0:120 offset1:130
	ds_write_b32 v95, v2 offset:560
	ds_write2_b32 v96, v4, v5 offset0:100 offset1:110
	ds_write2_b32 v96, v6, v3 offset0:120 offset1:130
	ds_write_b32 v96, v7 offset:560
	s_waitcnt lgkmcnt(0)
	s_barrier
	buffer_gl0_inv
	ds_read2_b32 v[2:3], v71 offset1:5
	ds_read2_b32 v[8:9], v71 offset0:50 offset1:55
	ds_read2_b32 v[10:11], v71 offset0:100 offset1:105
	;; [unrolled: 1-line block ×11, first 2 shown]
	s_waitcnt lgkmcnt(11)
	v_lshrrev_b32_e32 v45, 16, v2
	s_waitcnt lgkmcnt(10)
	v_lshrrev_b32_e32 v46, 16, v8
	;; [unrolled: 2-line block ×3, first 2 shown]
	v_lshrrev_b32_e32 v50, 16, v11
	v_mul_f16_sdwa v102, v23, v8 dst_sel:DWORD dst_unused:UNUSED_PAD src0_sel:WORD_1 src1_sel:DWORD
	v_mul_f16_sdwa v106, v24, v10 dst_sel:DWORD dst_unused:UNUSED_PAD src0_sel:WORD_1 src1_sel:DWORD
	v_mul_f16_sdwa v104, v23, v46 dst_sel:DWORD dst_unused:UNUSED_PAD src0_sel:WORD_1 src1_sel:DWORD
	v_mul_f16_sdwa v105, v24, v47 dst_sel:DWORD dst_unused:UNUSED_PAD src0_sel:WORD_1 src1_sel:DWORD
	v_lshrrev_b32_e32 v49, 16, v9
	s_waitcnt lgkmcnt(6)
	v_lshrrev_b32_e32 v53, 16, v14
	v_fma_f16 v46, v23, v46, -v102
	v_fmac_f16_e32 v104, v23, v8
	v_fmac_f16_e32 v105, v24, v10
	v_fma_f16 v23, v24, v47, -v106
	v_mul_f16_sdwa v24, v20, v50 dst_sel:DWORD dst_unused:UNUSED_PAD src0_sel:WORD_1 src1_sel:DWORD
	v_mul_f16_sdwa v106, v20, v11 dst_sel:DWORD dst_unused:UNUSED_PAD src0_sel:WORD_1 src1_sel:DWORD
	v_lshrrev_b32_e32 v56, 16, v15
	v_mul_f16_sdwa v102, v19, v49 dst_sel:DWORD dst_unused:UNUSED_PAD src0_sel:WORD_1 src1_sel:DWORD
	v_mul_f16_sdwa v47, v19, v9 dst_sel:DWORD dst_unused:UNUSED_PAD src0_sel:WORD_1 src1_sel:DWORD
	v_fmac_f16_e32 v24, v20, v11
	v_fma_f16 v20, v20, v50, -v106
	v_mul_f16_sdwa v50, v22, v53 dst_sel:DWORD dst_unused:UNUSED_PAD src0_sel:WORD_1 src1_sel:DWORD
	v_mul_f16_sdwa v106, v22, v14 dst_sel:DWORD dst_unused:UNUSED_PAD src0_sel:WORD_1 src1_sel:DWORD
	v_lshrrev_b32_e32 v52, 16, v12
	v_lshrrev_b32_e32 v55, 16, v13
	v_fmac_f16_e32 v102, v19, v9
	v_fma_f16 v19, v19, v49, -v47
	v_mul_f16_sdwa v47, v21, v12 dst_sel:DWORD dst_unused:UNUSED_PAD src0_sel:WORD_1 src1_sel:DWORD
	v_fmac_f16_e32 v50, v22, v14
	v_fma_f16 v14, v22, v53, -v106
	v_mul_f16_sdwa v22, v18, v56 dst_sel:DWORD dst_unused:UNUSED_PAD src0_sel:WORD_1 src1_sel:DWORD
	s_waitcnt lgkmcnt(4)
	v_lshrrev_b32_e32 v93, 16, v37
	s_waitcnt lgkmcnt(3)
	v_lshrrev_b32_e32 v94, 16, v39
	ds_read2_b32 v[10:11], v71 offset0:90 offset1:95
	v_mul_f16_sdwa v49, v21, v52 dst_sel:DWORD dst_unused:UNUSED_PAD src0_sel:WORD_1 src1_sel:DWORD
	v_fma_f16 v47, v21, v52, -v47
	v_mul_f16_sdwa v52, v17, v55 dst_sel:DWORD dst_unused:UNUSED_PAD src0_sel:WORD_1 src1_sel:DWORD
	v_mul_f16_sdwa v53, v18, v15 dst_sel:DWORD dst_unused:UNUSED_PAD src0_sel:WORD_1 src1_sel:DWORD
	v_fmac_f16_e32 v22, v18, v15
	v_mul_f16_sdwa v15, v27, v37 dst_sel:DWORD dst_unused:UNUSED_PAD src0_sel:WORD_1 src1_sel:DWORD
	v_lshrrev_b32_e32 v97, 16, v40
	v_fmac_f16_e32 v49, v21, v12
	v_mul_f16_sdwa v21, v17, v13 dst_sel:DWORD dst_unused:UNUSED_PAD src0_sel:WORD_1 src1_sel:DWORD
	v_fmac_f16_e32 v52, v17, v13
	ds_read2_b32 v[12:13], v71 offset0:140 offset1:145
	v_fma_f16 v18, v18, v56, -v53
	v_mul_f16_sdwa v53, v28, v39 dst_sel:DWORD dst_unused:UNUSED_PAD src0_sel:WORD_1 src1_sel:DWORD
	v_mul_f16_sdwa v56, v27, v93 dst_sel:DWORD dst_unused:UNUSED_PAD src0_sel:WORD_1 src1_sel:DWORD
	v_fma_f16 v15, v27, v93, -v15
	v_mul_f16_sdwa v93, v28, v94 dst_sel:DWORD dst_unused:UNUSED_PAD src0_sel:WORD_1 src1_sel:DWORD
	s_waitcnt lgkmcnt(3)
	v_lshrrev_b32_e32 v99, 16, v41
	v_fma_f16 v53, v28, v94, -v53
	v_fmac_f16_e32 v56, v27, v37
	v_mul_f16_sdwa v37, v26, v40 dst_sel:DWORD dst_unused:UNUSED_PAD src0_sel:WORD_1 src1_sel:DWORD
	v_fmac_f16_e32 v93, v28, v39
	v_mul_f16_sdwa v28, v26, v97 dst_sel:DWORD dst_unused:UNUSED_PAD src0_sel:WORD_1 src1_sel:DWORD
	v_lshrrev_b32_e32 v96, 16, v38
	s_waitcnt lgkmcnt(2)
	v_lshrrev_b32_e32 v100, 16, v43
	v_lshrrev_b32_e32 v103, 16, v42
	v_mul_f16_sdwa v39, v31, v41 dst_sel:DWORD dst_unused:UNUSED_PAD src0_sel:WORD_1 src1_sel:DWORD
	v_fmac_f16_e32 v28, v26, v40
	v_fma_f16 v26, v26, v97, -v37
	v_mul_f16_sdwa v37, v31, v99 dst_sel:DWORD dst_unused:UNUSED_PAD src0_sel:WORD_1 src1_sel:DWORD
	v_fma_f16 v17, v17, v55, -v21
	v_lshrrev_b32_e32 v21, 16, v44
	v_mul_f16_sdwa v94, v25, v96 dst_sel:DWORD dst_unused:UNUSED_PAD src0_sel:WORD_1 src1_sel:DWORD
	s_waitcnt lgkmcnt(1)
	v_lshrrev_b32_e32 v106, 16, v10
	v_mul_f16_sdwa v27, v25, v38 dst_sel:DWORD dst_unused:UNUSED_PAD src0_sel:WORD_1 src1_sel:DWORD
	v_mul_f16_sdwa v40, v32, v100 dst_sel:DWORD dst_unused:UNUSED_PAD src0_sel:WORD_1 src1_sel:DWORD
	;; [unrolled: 1-line block ×3, first 2 shown]
	v_fmac_f16_e32 v37, v31, v41
	v_fma_f16 v31, v31, v99, -v39
	v_mul_f16_sdwa v39, v29, v103 dst_sel:DWORD dst_unused:UNUSED_PAD src0_sel:WORD_1 src1_sel:DWORD
	v_mul_f16_sdwa v41, v29, v42 dst_sel:DWORD dst_unused:UNUSED_PAD src0_sel:WORD_1 src1_sel:DWORD
	v_fmac_f16_e32 v94, v25, v38
	s_waitcnt lgkmcnt(0)
	v_lshrrev_b32_e32 v38, 16, v12
	v_fma_f16 v25, v25, v96, -v27
	v_lshrrev_b32_e32 v96, 16, v11
	v_fmac_f16_e32 v40, v32, v43
	v_fma_f16 v32, v32, v100, -v97
	v_mul_f16_sdwa v97, v30, v21 dst_sel:DWORD dst_unused:UNUSED_PAD src0_sel:WORD_1 src1_sel:DWORD
	v_fmac_f16_e32 v39, v29, v42
	v_mul_f16_sdwa v42, v30, v44 dst_sel:DWORD dst_unused:UNUSED_PAD src0_sel:WORD_1 src1_sel:DWORD
	v_fma_f16 v29, v29, v103, -v41
	v_mul_f16_sdwa v41, v35, v106 dst_sel:DWORD dst_unused:UNUSED_PAD src0_sel:WORD_1 src1_sel:DWORD
	v_lshrrev_b32_e32 v43, 16, v13
	v_fmac_f16_e32 v97, v30, v44
	v_mul_f16_sdwa v44, v35, v10 dst_sel:DWORD dst_unused:UNUSED_PAD src0_sel:WORD_1 src1_sel:DWORD
	v_fma_f16 v21, v30, v21, -v42
	v_mul_f16_sdwa v30, v36, v38 dst_sel:DWORD dst_unused:UNUSED_PAD src0_sel:WORD_1 src1_sel:DWORD
	v_fmac_f16_e32 v41, v35, v10
	v_mul_f16_sdwa v10, v36, v12 dst_sel:DWORD dst_unused:UNUSED_PAD src0_sel:WORD_1 src1_sel:DWORD
	v_mul_f16_sdwa v42, v33, v96 dst_sel:DWORD dst_unused:UNUSED_PAD src0_sel:WORD_1 src1_sel:DWORD
	v_lshrrev_b32_e32 v48, 16, v3
	v_fmac_f16_e32 v30, v36, v12
	v_mul_f16_sdwa v12, v33, v11 dst_sel:DWORD dst_unused:UNUSED_PAD src0_sel:WORD_1 src1_sel:DWORD
	v_fma_f16 v10, v36, v38, -v10
	v_mul_f16_sdwa v36, v34, v43 dst_sel:DWORD dst_unused:UNUSED_PAD src0_sel:WORD_1 src1_sel:DWORD
	v_fmac_f16_e32 v42, v33, v11
	v_mul_f16_sdwa v11, v34, v13 dst_sel:DWORD dst_unused:UNUSED_PAD src0_sel:WORD_1 src1_sel:DWORD
	v_fma_f16 v12, v33, v96, -v12
	v_add_f16_e32 v33, v104, v105
	v_fmac_f16_e32 v36, v34, v13
	v_add_f16_e32 v13, v2, v104
	v_fma_f16 v11, v34, v43, -v11
	v_add_f16_e32 v34, v46, v23
	v_fma_f16 v2, -0.5, v33, v2
	v_sub_f16_e32 v33, v46, v23
	v_add_f16_e32 v38, v45, v46
	v_fma_f16 v35, v35, v106, -v44
	v_fmac_f16_e32 v45, -0.5, v34
	v_sub_f16_e32 v34, v104, v105
	v_fmamk_f16 v43, v33, 0xbaee, v2
	v_fmac_f16_e32 v2, 0x3aee, v33
	v_add_f16_e32 v23, v38, v23
	v_add_f16_e32 v33, v102, v24
	v_fmamk_f16 v38, v34, 0x3aee, v45
	v_add_f16_e32 v44, v3, v102
	v_fmac_f16_e32 v45, 0xbaee, v34
	v_add_f16_e32 v34, v19, v20
	v_fmac_f16_e32 v3, -0.5, v33
	v_sub_f16_e32 v33, v19, v20
	v_add_f16_e32 v44, v44, v24
	v_add_f16_e32 v19, v48, v19
	v_fmac_f16_e32 v48, -0.5, v34
	v_sub_f16_e32 v24, v102, v24
	v_lshrrev_b32_e32 v51, 16, v0
	v_fmamk_f16 v34, v33, 0xbaee, v3
	v_fmac_f16_e32 v3, 0x3aee, v33
	v_add_f16_e32 v19, v19, v20
	v_add_f16_e32 v20, v49, v50
	v_fmamk_f16 v33, v24, 0x3aee, v48
	v_fmac_f16_e32 v48, 0xbaee, v24
	v_add_f16_e32 v24, v47, v14
	v_add_f16_e32 v46, v0, v49
	v_fma_f16 v0, -0.5, v20, v0
	v_sub_f16_e32 v20, v47, v14
	v_add_f16_e32 v47, v51, v47
	v_fmac_f16_e32 v51, -0.5, v24
	v_sub_f16_e32 v24, v49, v50
	v_lshrrev_b32_e32 v54, 16, v1
	v_add_f16_e32 v46, v46, v50
	v_fmamk_f16 v49, v20, 0xbaee, v0
	v_fmac_f16_e32 v0, 0x3aee, v20
	v_add_f16_e32 v14, v47, v14
	v_add_f16_e32 v20, v52, v22
	v_fmamk_f16 v47, v24, 0x3aee, v51
	v_add_f16_e32 v50, v1, v52
	v_fmac_f16_e32 v51, 0xbaee, v24
	v_add_f16_e32 v24, v17, v18
	v_fmac_f16_e32 v1, -0.5, v20
	v_sub_f16_e32 v20, v17, v18
	v_add_f16_e32 v50, v50, v22
	v_add_f16_e32 v17, v54, v17
	v_fmac_f16_e32 v54, -0.5, v24
	v_sub_f16_e32 v22, v52, v22
	v_lshrrev_b32_e32 v92, 16, v4
	v_fmamk_f16 v24, v20, 0xbaee, v1
	v_fmac_f16_e32 v1, 0x3aee, v20
	v_add_f16_e32 v17, v17, v18
	v_add_f16_e32 v18, v56, v93
	v_fmamk_f16 v20, v22, 0x3aee, v54
	v_fmac_f16_e32 v54, 0xbaee, v22
	v_add_f16_e32 v22, v15, v53
	v_add_f16_e32 v52, v4, v56
	v_fma_f16 v4, -0.5, v18, v4
	v_sub_f16_e32 v18, v15, v53
	v_add_f16_e32 v15, v92, v15
	v_fmac_f16_e32 v92, -0.5, v22
	v_sub_f16_e32 v22, v56, v93
	v_lshrrev_b32_e32 v95, 16, v5
	v_fmamk_f16 v56, v18, 0xbaee, v4
	v_fmac_f16_e32 v4, 0x3aee, v18
	v_add_f16_e32 v15, v15, v53
	v_add_f16_e32 v18, v94, v28
	v_fmamk_f16 v53, v22, 0x3aee, v92
	v_fmac_f16_e32 v92, 0xbaee, v22
	v_add_f16_e32 v22, v25, v26
	v_add_f16_e32 v52, v52, v93
	v_add_f16_e32 v93, v5, v94
	v_fmac_f16_e32 v5, -0.5, v18
	v_sub_f16_e32 v18, v25, v26
	v_add_f16_e32 v25, v95, v25
	v_fmac_f16_e32 v95, -0.5, v22
	v_sub_f16_e32 v22, v94, v28
	v_lshrrev_b32_e32 v98, 16, v6
	ds_read2_b32 v[8:9], v71 offset0:40 offset1:45
	v_add_f16_e32 v93, v93, v28
	v_fmamk_f16 v28, v18, 0xbaee, v5
	v_fmac_f16_e32 v5, 0x3aee, v18
	v_add_f16_e32 v18, v25, v26
	v_add_f16_e32 v25, v37, v40
	v_fmamk_f16 v26, v22, 0x3aee, v95
	v_fmac_f16_e32 v95, 0xbaee, v22
	v_add_f16_e32 v22, v31, v32
	v_add_f16_e32 v94, v6, v37
	v_fma_f16 v6, -0.5, v25, v6
	v_sub_f16_e32 v25, v31, v32
	v_add_f16_e32 v31, v98, v31
	v_fmac_f16_e32 v98, -0.5, v22
	v_sub_f16_e32 v22, v37, v40
	v_lshrrev_b32_e32 v101, 16, v7
	v_fmamk_f16 v37, v25, 0xbaee, v6
	v_fmac_f16_e32 v6, 0x3aee, v25
	v_add_f16_e32 v25, v31, v32
	v_add_f16_e32 v31, v39, v97
	v_fmamk_f16 v32, v22, 0x3aee, v98
	v_fmac_f16_e32 v98, 0xbaee, v22
	v_add_f16_e32 v22, v29, v21
	v_add_f16_e32 v94, v94, v40
	v_add_f16_e32 v40, v7, v39
	v_fmac_f16_e32 v7, -0.5, v31
	v_sub_f16_e32 v31, v29, v21
	v_add_f16_e32 v29, v101, v29
	v_fmac_f16_e32 v101, -0.5, v22
	v_sub_f16_e32 v22, v39, v97
	s_waitcnt lgkmcnt(0)
	v_lshrrev_b32_e32 v55, 16, v8
	v_fmamk_f16 v39, v31, 0xbaee, v7
	v_fmac_f16_e32 v7, 0x3aee, v31
	v_add_f16_e32 v21, v29, v21
	v_add_f16_e32 v29, v41, v30
	v_fmamk_f16 v31, v22, 0x3aee, v101
	v_fmac_f16_e32 v101, 0xbaee, v22
	v_add_f16_e32 v22, v35, v10
	v_lshrrev_b32_e32 v27, 16, v9
	v_add_f16_e32 v96, v8, v41
	v_fma_f16 v8, -0.5, v29, v8
	v_sub_f16_e32 v29, v35, v10
	v_add_f16_e32 v35, v55, v35
	v_fmac_f16_e32 v55, -0.5, v22
	v_sub_f16_e32 v22, v41, v30
	v_add_f16_e32 v41, v42, v36
	v_add_f16_e32 v96, v96, v30
	v_fmamk_f16 v30, v29, 0xbaee, v8
	v_fmac_f16_e32 v8, 0x3aee, v29
	v_add_f16_e32 v10, v35, v10
	v_fmamk_f16 v29, v22, 0x3aee, v55
	v_add_f16_e32 v35, v9, v42
	v_fmac_f16_e32 v9, -0.5, v41
	v_sub_f16_e32 v41, v12, v11
	v_fmac_f16_e32 v55, 0xbaee, v22
	v_add_f16_e32 v22, v27, v12
	v_add_f16_e32 v12, v12, v11
	;; [unrolled: 1-line block ×3, first 2 shown]
	v_pack_b32_f16 v2, v2, v45
	v_pack_b32_f16 v19, v44, v19
	v_add_f16_e32 v11, v22, v11
	v_fmac_f16_e32 v27, -0.5, v12
	v_sub_f16_e32 v12, v42, v36
	v_pack_b32_f16 v22, v43, v38
	v_pack_b32_f16 v13, v13, v23
	ds_write_b32 v71, v22 offset:200
	ds_write_b32 v71, v2 offset:400
	ds_write2_b32 v71, v13, v19 offset1:5
	v_fmamk_f16 v23, v12, 0x3aee, v27
	v_fmac_f16_e32 v27, 0xbaee, v12
	v_pack_b32_f16 v2, v34, v33
	v_pack_b32_f16 v12, v49, v47
	;; [unrolled: 1-line block ×6, first 2 shown]
	ds_write2_b32 v71, v2, v12 offset0:55 offset1:60
	v_pack_b32_f16 v2, v24, v20
	v_pack_b32_f16 v12, v56, v53
	v_add_f16_e32 v40, v40, v97
	ds_write2_b32 v71, v3, v0 offset0:105 offset1:110
	ds_write2_b32 v71, v13, v14 offset0:10 offset1:15
	v_pack_b32_f16 v0, v1, v54
	v_pack_b32_f16 v1, v52, v15
	ds_write2_b32 v71, v2, v12 offset0:65 offset1:70
	v_pack_b32_f16 v2, v4, v92
	v_pack_b32_f16 v3, v93, v18
	v_add_f16_e32 v35, v35, v36
	v_pack_b32_f16 v4, v28, v26
	v_pack_b32_f16 v13, v37, v32
	v_fmamk_f16 v97, v41, 0xbaee, v9
	v_pack_b32_f16 v5, v5, v95
	v_pack_b32_f16 v6, v6, v98
	v_fmac_f16_e32 v9, 0x3aee, v41
	v_pack_b32_f16 v12, v94, v25
	v_pack_b32_f16 v14, v40, v21
	ds_write2_b32 v71, v0, v2 offset0:115 offset1:120
	ds_write2_b32 v71, v1, v3 offset0:20 offset1:25
	;; [unrolled: 1-line block ×5, first 2 shown]
	v_pack_b32_f16 v0, v39, v31
	v_pack_b32_f16 v3, v30, v29
	;; [unrolled: 1-line block ×8, first 2 shown]
	ds_write2_b32 v71, v0, v3 offset0:85 offset1:90
	ds_write2_b32 v71, v1, v4 offset0:135 offset1:140
	;; [unrolled: 1-line block ×3, first 2 shown]
	ds_write_b32 v71, v6 offset:380
	ds_write_b32 v71, v7 offset:580
	s_waitcnt lgkmcnt(0)
	s_barrier
	buffer_gl0_inv
	ds_read2_b32 v[12:13], v71 offset1:5
	s_waitcnt lgkmcnt(0)
	v_lshrrev_b32_e32 v2, 16, v12
	v_mul_f16_sdwa v3, v91, v12 dst_sel:DWORD dst_unused:UNUSED_PAD src0_sel:WORD_1 src1_sel:DWORD
	v_mul_f16_sdwa v0, v91, v2 dst_sel:DWORD dst_unused:UNUSED_PAD src0_sel:WORD_1 src1_sel:DWORD
	v_fma_f16 v2, v91, v2, -v3
	v_fmac_f16_e32 v0, v91, v12
	v_cvt_f32_f16_e32 v2, v2
	v_cvt_f32_f16_e32 v0, v0
	v_cvt_f64_f32_e32 v[2:3], v2
	v_cvt_f64_f32_e32 v[0:1], v0
	v_mul_f64 v[2:3], v[2:3], s[2:3]
	v_mul_f64 v[4:5], v[0:1], s[2:3]
	ds_read2_b32 v[0:1], v71 offset0:10 offset1:15
	v_and_or_b32 v2, 0x1ff, v3, v2
	v_lshrrev_b32_e32 v9, 8, v3
	v_bfe_u32 v12, v3, 20, 11
	s_waitcnt lgkmcnt(0)
	v_lshrrev_b32_e32 v10, 16, v1
	v_and_or_b32 v4, 0x1ff, v5, v4
	v_lshrrev_b32_e32 v6, 8, v5
	v_bfe_u32 v7, v5, 20, 11
	v_add_nc_u32_e32 v19, 0xfffffc10, v12
	v_cmp_ne_u32_e32 vcc_lo, 0, v4
	v_add_nc_u32_e32 v17, 0xfffffc10, v7
	v_cmp_gt_i32_e64 s1, 1, v19
	v_cndmask_b32_e64 v4, 0, 1, vcc_lo
	v_cmp_ne_u32_e32 vcc_lo, 0, v2
	v_and_or_b32 v4, 0xffe, v6, v4
	v_sub_nc_u32_e32 v6, 0x3f1, v7
	v_cndmask_b32_e64 v2, 0, 1, vcc_lo
	v_or_b32_e32 v8, 0x1000, v4
	v_med3_i32 v6, v6, 0, 13
	v_and_or_b32 v14, 0xffe, v9, v2
	v_mul_f16_sdwa v2, v90, v10 dst_sel:DWORD dst_unused:UNUSED_PAD src0_sel:WORD_1 src1_sel:DWORD
	v_sub_nc_u32_e32 v9, 0x3f1, v12
	v_lshrrev_b32_e32 v11, v6, v8
	v_or_b32_e32 v15, 0x1000, v14
	v_fmac_f16_e32 v2, v90, v1
	v_mul_f16_sdwa v1, v90, v1 dst_sel:DWORD dst_unused:UNUSED_PAD src0_sel:WORD_1 src1_sel:DWORD
	v_lshl_or_b32 v12, v19, 12, v14
	v_lshlrev_b32_e32 v6, v6, v11
	v_cvt_f32_f16_e32 v2, v2
	v_cmp_ne_u32_e32 vcc_lo, v6, v8
	v_med3_i32 v8, v9, 0, 13
	v_cndmask_b32_e64 v6, 0, 1, vcc_lo
	v_lshrrev_b32_e32 v18, v8, v15
	v_cmp_gt_i32_e32 vcc_lo, 1, v17
	v_or_b32_e32 v9, v11, v6
	v_lshl_or_b32 v11, v17, 12, v4
	v_cvt_f64_f32_e32 v[6:7], v2
	v_lshlrev_b32_e32 v2, v8, v18
	v_cndmask_b32_e32 v9, v11, v9, vcc_lo
	v_cmp_ne_u32_e32 vcc_lo, v2, v15
	v_and_b32_e32 v8, 7, v9
	v_lshrrev_b32_e32 v9, 2, v9
	v_cndmask_b32_e64 v2, 0, 1, vcc_lo
	v_cmp_lt_i32_e32 vcc_lo, 5, v8
	v_cmp_eq_u32_e64 s0, 3, v8
	v_or_b32_e32 v11, v18, v2
	v_fma_f16 v8, v90, v10, -v1
	v_lshrrev_b32_e32 v18, 16, v5
	v_mad_u64_u32 v[1:2], null, s10, v16, 0
	v_cndmask_b32_e64 v10, v12, v11, s1
	v_cvt_f32_f16_e32 v8, v8
	s_or_b32 vcc_lo, s0, vcc_lo
	v_mul_f64 v[6:7], v[6:7], s[2:3]
	v_add_co_ci_u32_e32 v11, vcc_lo, 0, v9, vcc_lo
	v_and_b32_e32 v12, 7, v10
	v_cmp_ne_u32_e32 vcc_lo, 0, v4
	v_cvt_f64_f32_e32 v[8:9], v8
	v_lshrrev_b32_e32 v10, 2, v10
	v_cmp_gt_i32_e64 s1, 31, v17
	v_cmp_eq_u32_e64 s0, 3, v12
	v_cndmask_b32_e64 v4, 0, 1, vcc_lo
	v_cmp_lt_i32_e32 vcc_lo, 5, v12
	s_mul_i32 s10, s9, 0xfffffdf8
	v_cndmask_b32_e64 v15, 0x7c00, v11, s1
	ds_read2_b32 v[11:12], v71 offset0:30 offset1:35
	v_lshl_or_b32 v4, v4, 9, 0x7c00
	s_or_b32 vcc_lo, s0, vcc_lo
	s_sub_i32 s10, s10, s8
	v_add_co_ci_u32_e32 v10, vcc_lo, 0, v10, vcc_lo
	v_cmp_ne_u32_e32 vcc_lo, 0, v14
	v_and_or_b32 v6, 0x1ff, v7, v6
	v_lshrrev_b32_e32 v21, 8, v7
	v_cndmask_b32_e64 v14, 0, 1, vcc_lo
	v_cmp_eq_u32_e32 vcc_lo, 0x40f, v17
	v_bfe_u32 v22, v7, 20, 11
	v_lshl_or_b32 v20, v14, 9, 0x7c00
	v_cndmask_b32_e32 v17, v15, v4, vcc_lo
	v_mul_f64 v[4:5], v[8:9], s[2:3]
	v_cmp_gt_i32_e32 vcc_lo, 31, v19
	v_mad_u64_u32 v[8:9], null, s8, v87, 0
	v_mad_u64_u32 v[14:15], null, s11, v16, v[2:3]
	v_cndmask_b32_e32 v10, 0x7c00, v10, vcc_lo
	v_cmp_ne_u32_e32 vcc_lo, 0, v6
	v_and_or_b32 v15, 0x8000, v18, v17
	v_sub_nc_u32_e32 v16, 0x3f1, v22
	s_waitcnt lgkmcnt(0)
	v_lshrrev_b32_e32 v18, 16, v11
	v_mov_b32_e32 v2, v9
	v_cndmask_b32_e64 v6, 0, 1, vcc_lo
	v_cmp_eq_u32_e32 vcc_lo, 0x40f, v19
	v_lshrrev_b32_e32 v3, 16, v3
	v_med3_i32 v16, v16, 0, 13
	v_and_b32_e32 v15, 0xffff, v15
	v_and_or_b32 v6, 0xffe, v21, v6
	v_cndmask_b32_e32 v17, v10, v20, vcc_lo
	v_mul_f16_sdwa v20, v89, v18 dst_sel:DWORD dst_unused:UNUSED_PAD src0_sel:WORD_1 src1_sel:DWORD
	v_mad_u64_u32 v[9:10], null, s9, v87, v[2:3]
	v_or_b32_e32 v19, 0x1000, v6
	v_and_or_b32 v4, 0x1ff, v5, v4
	v_fmac_f16_e32 v20, v89, v11
	v_mov_b32_e32 v2, v14
	v_and_or_b32 v14, 0x8000, v3, v17
	v_lshrrev_b32_e32 v10, v16, v19
	v_cmp_ne_u32_e32 vcc_lo, 0, v4
	v_cvt_f32_f16_e32 v3, v20
	v_lshrrev_b32_e32 v20, 8, v5
	v_bfe_u32 v21, v5, 20, 11
	v_lshlrev_b32_e32 v16, v16, v10
	v_cndmask_b32_e64 v17, 0, 1, vcc_lo
	v_cvt_f64_f32_e32 v[3:4], v3
	v_lshl_or_b32 v24, v14, 16, v15
	v_lshlrev_b64 v[1:2], 2, v[1:2]
	v_cmp_ne_u32_e32 vcc_lo, v16, v19
	v_and_or_b32 v20, 0xffe, v20, v17
	v_sub_nc_u32_e32 v17, 0x3f1, v21
	v_add_nc_u32_e32 v19, 0xfffffc10, v22
	v_add_nc_u32_e32 v21, 0xfffffc10, v21
	v_cndmask_b32_e64 v16, 0, 1, vcc_lo
	v_or_b32_e32 v22, 0x1000, v20
	v_med3_i32 v17, v17, 0, 13
	v_cmp_gt_i32_e32 vcc_lo, 1, v19
	v_lshlrev_b64 v[8:9], 2, v[8:9]
	v_or_b32_e32 v10, v10, v16
	v_lshl_or_b32 v16, v19, 12, v6
	v_lshrrev_b32_e32 v23, v17, v22
	v_lshrrev_b32_e32 v5, 16, v5
	v_cndmask_b32_e32 v16, v16, v10, vcc_lo
	v_lshlrev_b32_e32 v17, v17, v23
	v_mul_f16_sdwa v10, v89, v11 dst_sel:DWORD dst_unused:UNUSED_PAD src0_sel:WORD_1 src1_sel:DWORD
	v_and_b32_e32 v14, 7, v16
	v_cmp_ne_u32_e64 s0, v17, v22
	v_fma_f16 v15, v89, v18, -v10
	v_mul_f64 v[10:11], v[3:4], s[2:3]
	v_add_co_u32 v17, s1, s4, v1
	v_cmp_lt_i32_e32 vcc_lo, 5, v14
	v_cndmask_b32_e64 v4, 0, 1, s0
	v_cmp_eq_u32_e64 s0, 3, v14
	v_lshrrev_b32_e32 v1, 2, v16
	v_cvt_f32_f16_e32 v3, v15
	v_add_co_ci_u32_e64 v18, s1, s5, v2, s1
	s_or_b32 vcc_lo, s0, vcc_lo
	v_or_b32_e32 v2, v23, v4
	v_add_co_ci_u32_e32 v22, vcc_lo, 0, v1, vcc_lo
	v_cmp_ne_u32_e32 vcc_lo, 0, v6
	v_cvt_f64_f32_e32 v[14:15], v3
	v_lshl_or_b32 v16, v21, 12, v20
	ds_read2_b32 v[3:4], v71 offset0:40 offset1:45
	s_mul_i32 s1, s9, 60
	v_cndmask_b32_e64 v6, 0, 1, vcc_lo
	v_cmp_gt_i32_e32 vcc_lo, 1, v21
	s_mul_hi_u32 s4, s8, 60
	v_and_or_b32 v10, 0x1ff, v11, v10
	s_add_i32 s4, s4, s1
	v_lshl_or_b32 v6, v6, 9, 0x7c00
	v_cndmask_b32_e32 v16, v16, v2, vcc_lo
	v_add_co_u32 v1, vcc_lo, v17, v8
	v_add_co_ci_u32_e32 v2, vcc_lo, v18, v9, vcc_lo
	v_cmp_gt_i32_e32 vcc_lo, 31, v19
	v_and_b32_e32 v23, 7, v16
	v_lshrrev_b32_e32 v16, 2, v16
	global_store_dword v[1:2], v24, off
	s_mul_i32 s5, s8, 60
	v_cndmask_b32_e32 v22, 0x7c00, v22, vcc_lo
	v_cmp_ne_u32_e32 vcc_lo, 0, v10
	v_cmp_eq_u32_e64 s0, 3, v23
	v_mul_f64 v[8:9], v[14:15], s[2:3]
	v_lshrrev_b32_e32 v14, 8, v11
	v_bfe_u32 v15, v11, 20, 11
	v_cndmask_b32_e64 v10, 0, 1, vcc_lo
	v_cmp_lt_i32_e32 vcc_lo, 5, v23
	v_sub_nc_u32_e32 v23, 0x3f1, v15
	v_and_or_b32 v10, 0xffe, v14, v10
	s_or_b32 vcc_lo, s0, vcc_lo
	s_waitcnt lgkmcnt(0)
	v_lshrrev_b32_e32 v14, 16, v4
	v_add_co_ci_u32_e32 v16, vcc_lo, 0, v16, vcc_lo
	v_cmp_eq_u32_e32 vcc_lo, 0x40f, v19
	v_or_b32_e32 v25, 0x1000, v10
	v_mul_f16_sdwa v26, v88, v14 dst_sel:DWORD dst_unused:UNUSED_PAD src0_sel:WORD_1 src1_sel:DWORD
	v_med3_i32 v23, v23, 0, 13
	v_cndmask_b32_e32 v19, v22, v6, vcc_lo
	v_cmp_ne_u32_e32 vcc_lo, 0, v20
	v_fmac_f16_e32 v26, v88, v4
	v_lshrrev_b32_e32 v20, v23, v25
	v_and_or_b32 v8, 0x1ff, v9, v8
	v_mul_f16_sdwa v4, v88, v4 dst_sel:DWORD dst_unused:UNUSED_PAD src0_sel:WORD_1 src1_sel:DWORD
	v_cndmask_b32_e64 v6, 0, 1, vcc_lo
	v_cmp_gt_i32_e32 vcc_lo, 31, v21
	v_cvt_f32_f16_e32 v22, v26
	v_lshrrev_b32_e32 v26, 16, v7
	v_lshlrev_b32_e32 v23, v23, v20
	v_lshl_or_b32 v6, v6, 9, 0x7c00
	v_cndmask_b32_e32 v16, 0x7c00, v16, vcc_lo
	v_cmp_eq_u32_e32 vcc_lo, 0x40f, v21
	v_lshrrev_b32_e32 v21, 8, v9
	v_and_or_b32 v19, 0x8000, v26, v19
	v_fma_f16 v4, v88, v14, -v4
	v_cndmask_b32_e32 v16, v16, v6, vcc_lo
	v_cmp_ne_u32_e32 vcc_lo, 0, v8
	v_cvt_f64_f32_e32 v[6:7], v22
	v_bfe_u32 v22, v9, 20, 11
	v_cvt_f32_f16_e32 v14, v4
	v_and_or_b32 v16, 0x8000, v5, v16
	v_cndmask_b32_e64 v8, 0, 1, vcc_lo
	v_cmp_ne_u32_e32 vcc_lo, v23, v25
	v_add_nc_u32_e32 v25, 0xfffffc10, v15
	v_lshrrev_b32_e32 v9, 16, v9
	v_and_or_b32 v8, 0xffe, v21, v8
	v_sub_nc_u32_e32 v21, 0x3f1, v22
	v_cndmask_b32_e64 v23, 0, 1, vcc_lo
	v_cmp_gt_i32_e32 vcc_lo, 1, v25
	v_cmp_eq_u32_e64 s1, 0x40f, v25
	v_or_b32_e32 v26, 0x1000, v8
	v_med3_i32 v15, v21, 0, 13
	v_or_b32_e32 v20, v20, v23
	v_lshl_or_b32 v21, v25, 12, v10
	v_lshrrev_b32_e32 v23, v15, v26
	v_cndmask_b32_e32 v20, v21, v20, vcc_lo
	v_mul_f64 v[4:5], v[6:7], s[2:3]
	v_and_b32_e32 v6, 0xffff, v19
	v_lshlrev_b32_e32 v7, v15, v23
	v_cvt_f64_f32_e32 v[14:15], v14
	v_and_b32_e32 v19, 7, v20
	v_add_nc_u32_e32 v21, 0xfffffc10, v22
	v_lshl_or_b32 v16, v16, 16, v6
	v_cmp_ne_u32_e64 s0, v7, v26
	v_cmp_lt_i32_e32 vcc_lo, 5, v19
	v_lshl_or_b32 v22, v21, 12, v8
	v_cndmask_b32_e64 v6, 0, 1, s0
	v_cmp_eq_u32_e64 s0, 3, v19
	v_lshrrev_b32_e32 v19, 2, v20
	v_or_b32_e32 v20, v23, v6
	s_or_b32 vcc_lo, s0, vcc_lo
	ds_read2_b32 v[6:7], v71 offset0:60 offset1:65
	v_add_co_ci_u32_e32 v19, vcc_lo, 0, v19, vcc_lo
	v_cmp_ne_u32_e32 vcc_lo, 0, v10
	v_and_or_b32 v4, 0x1ff, v5, v4
	v_bfe_u32 v23, v5, 20, 11
	v_mul_f64 v[14:15], v[14:15], s[2:3]
	v_cndmask_b32_e64 v10, 0, 1, vcc_lo
	v_cmp_gt_i32_e32 vcc_lo, 1, v21
	v_lshl_or_b32 v10, v10, 9, 0x7c00
	v_cndmask_b32_e32 v20, v22, v20, vcc_lo
	v_cmp_ne_u32_e32 vcc_lo, 0, v4
	v_lshrrev_b32_e32 v22, 8, v5
	v_and_b32_e32 v24, 7, v20
	v_cndmask_b32_e64 v4, 0, 1, vcc_lo
	v_cmp_gt_i32_e32 vcc_lo, 31, v25
	s_waitcnt lgkmcnt(0)
	v_lshrrev_b32_e32 v26, 16, v6
	v_lshrrev_b32_e32 v25, 16, v11
	v_cmp_eq_u32_e64 s0, 3, v24
	v_and_or_b32 v4, 0xffe, v22, v4
	v_cndmask_b32_e32 v19, 0x7c00, v19, vcc_lo
	v_cmp_lt_i32_e32 vcc_lo, 5, v24
	v_sub_nc_u32_e32 v22, 0x3f1, v23
	v_mul_f16_sdwa v27, v86, v26 dst_sel:DWORD dst_unused:UNUSED_PAD src0_sel:WORD_1 src1_sel:DWORD
	v_or_b32_e32 v24, 0x1000, v4
	v_cndmask_b32_e64 v19, v19, v10, s1
	v_lshrrev_b32_e32 v10, 2, v20
	s_or_b32 vcc_lo, s0, vcc_lo
	v_med3_i32 v22, v22, 0, 13
	v_fmac_f16_e32 v27, v86, v6
	v_and_or_b32 v14, 0x1ff, v15, v14
	v_add_co_ci_u32_e32 v10, vcc_lo, 0, v10, vcc_lo
	v_cmp_gt_i32_e32 vcc_lo, 31, v21
	v_lshrrev_b32_e32 v20, v22, v24
	v_cvt_f32_f16_e32 v11, v27
	v_lshrrev_b32_e32 v28, 8, v15
	v_bfe_u32 v29, v15, 20, 11
	v_cndmask_b32_e32 v27, 0x7c00, v10, vcc_lo
	v_cmp_ne_u32_e32 vcc_lo, 0, v14
	v_lshlrev_b32_e32 v22, v22, v20
	v_cvt_f64_f32_e32 v[10:11], v11
	v_add_nc_u32_e32 v23, 0xfffffc10, v23
	v_mul_f16_sdwa v6, v86, v6 dst_sel:DWORD dst_unused:UNUSED_PAD src0_sel:WORD_1 src1_sel:DWORD
	v_cndmask_b32_e64 v14, 0, 1, vcc_lo
	v_cmp_ne_u32_e32 vcc_lo, 0, v8
	v_and_or_b32 v19, 0x8000, v25, v19
	v_fma_f16 v6, v86, v26, -v6
	v_and_or_b32 v14, 0xffe, v28, v14
	v_cndmask_b32_e64 v8, 0, 1, vcc_lo
	v_cmp_ne_u32_e32 vcc_lo, v22, v24
	v_sub_nc_u32_e32 v24, 0x3f1, v29
	v_lshl_or_b32 v28, v23, 12, v4
	v_cvt_f32_f16_e32 v6, v6
	v_lshl_or_b32 v8, v8, 9, 0x7c00
	v_cndmask_b32_e64 v22, 0, 1, vcc_lo
	v_med3_i32 v24, v24, 0, 13
	v_cmp_eq_u32_e32 vcc_lo, 0x40f, v21
	v_or_b32_e32 v20, v20, v22
	v_or_b32_e32 v22, 0x1000, v14
	v_cndmask_b32_e32 v8, v27, v8, vcc_lo
	v_cmp_gt_i32_e32 vcc_lo, 1, v23
	v_mul_f64 v[10:11], v[10:11], s[2:3]
	v_and_b32_e32 v27, 0xffff, v19
	v_lshrrev_b32_e32 v21, v24, v22
	v_and_or_b32 v26, 0x8000, v9, v8
	v_cndmask_b32_e32 v25, v28, v20, vcc_lo
	v_cvt_f64_f32_e32 v[8:9], v6
	v_add_co_u32 v19, s1, v1, s5
	v_lshlrev_b32_e32 v24, v24, v21
	v_and_b32_e32 v20, 7, v25
	v_lshrrev_b32_e32 v1, 2, v25
	v_lshl_or_b32 v25, v26, 16, v27
	v_cmp_ne_u32_e64 s0, v24, v22
	v_cmp_lt_i32_e32 vcc_lo, 5, v20
	v_add_nc_u32_e32 v24, 0xfffffc10, v29
	v_lshrrev_b32_e32 v29, 16, v5
	v_cndmask_b32_e64 v22, 0, 1, s0
	v_cmp_eq_u32_e64 s0, 3, v20
	v_add_co_ci_u32_e64 v20, s1, s4, v2, s1
	v_lshl_or_b32 v6, v24, 12, v14
	v_or_b32_e32 v2, v21, v22
	s_or_b32 vcc_lo, s0, vcc_lo
	v_and_or_b32 v10, 0x1ff, v11, v10
	v_add_co_ci_u32_e32 v21, vcc_lo, 0, v1, vcc_lo
	v_cmp_gt_i32_e32 vcc_lo, 1, v24
	v_cmp_eq_u32_e64 s1, 0x40f, v23
	v_lshrrev_b32_e32 v27, 8, v11
	v_cndmask_b32_e32 v6, v6, v2, vcc_lo
	v_cmp_ne_u32_e32 vcc_lo, 0, v4
	ds_read2_b32 v[1:2], v71 offset0:70 offset1:75
	v_and_b32_e32 v22, 7, v6
	v_cndmask_b32_e64 v4, 0, 1, vcc_lo
	v_cmp_ne_u32_e32 vcc_lo, 0, v10
	v_mul_f64 v[9:10], v[8:9], s[2:3]
	v_bfe_u32 v8, v11, 20, 11
	v_cmp_eq_u32_e64 s0, 3, v22
	v_lshl_or_b32 v4, v4, 9, 0x7c00
	v_cndmask_b32_e64 v26, 0, 1, vcc_lo
	v_cmp_gt_i32_e32 vcc_lo, 31, v23
	v_add_nc_u32_e32 v31, 0xfffffc10, v8
	v_lshrrev_b32_e32 v11, 16, v11
	v_and_or_b32 v26, 0xffe, v27, v26
	v_cndmask_b32_e32 v21, 0x7c00, v21, vcc_lo
	v_cmp_lt_i32_e32 vcc_lo, 5, v22
	v_sub_nc_u32_e32 v27, 0x3f1, v8
	s_waitcnt lgkmcnt(0)
	v_lshrrev_b32_e32 v23, 16, v2
	v_cndmask_b32_e64 v21, v21, v4, s1
	v_lshrrev_b32_e32 v4, 2, v6
	s_or_b32 vcc_lo, s0, vcc_lo
	v_or_b32_e32 v6, 0x1000, v26
	v_med3_i32 v22, v27, 0, 13
	v_mul_f16_sdwa v28, v85, v23 dst_sel:DWORD dst_unused:UNUSED_PAD src0_sel:WORD_1 src1_sel:DWORD
	v_add_co_ci_u32_e32 v4, vcc_lo, 0, v4, vcc_lo
	v_cmp_ne_u32_e32 vcc_lo, 0, v14
	v_lshrrev_b32_e32 v27, v22, v6
	v_and_or_b32 v9, 0x1ff, v10, v9
	v_fmac_f16_e32 v28, v85, v2
	v_bfe_u32 v30, v10, 20, 11
	v_cndmask_b32_e64 v14, 0, 1, vcc_lo
	v_cmp_gt_i32_e32 vcc_lo, 31, v24
	v_lshlrev_b32_e32 v5, v22, v27
	v_mul_f16_sdwa v2, v85, v2 dst_sel:DWORD dst_unused:UNUSED_PAD src0_sel:WORD_1 src1_sel:DWORD
	v_sub_nc_u32_e32 v8, 0x3f1, v30
	v_lshl_or_b32 v14, v14, 9, 0x7c00
	v_cndmask_b32_e32 v22, 0x7c00, v4, vcc_lo
	v_cmp_ne_u32_e32 vcc_lo, 0, v9
	v_cvt_f32_f16_e32 v4, v28
	v_lshrrev_b32_e32 v28, 8, v10
	v_med3_i32 v8, v8, 0, 13
	v_fma_f16 v2, v85, v23, -v2
	v_cndmask_b32_e64 v9, 0, 1, vcc_lo
	v_cmp_ne_u32_e32 vcc_lo, v5, v6
	v_cvt_f64_f32_e32 v[4:5], v4
	v_cvt_f32_f16_e32 v2, v2
	v_and_or_b32 v28, 0xffe, v28, v9
	v_cndmask_b32_e64 v6, 0, 1, vcc_lo
	v_cmp_eq_u32_e32 vcc_lo, 0x40f, v24
	v_and_or_b32 v9, 0x8000, v29, v21
	v_lshl_or_b32 v21, v31, 12, v26
	v_lshrrev_b32_e32 v24, 16, v15
	v_or_b32_e32 v6, v27, v6
	v_or_b32_e32 v27, 0x1000, v28
	v_cndmask_b32_e32 v22, v22, v14, vcc_lo
	v_cmp_gt_i32_e32 vcc_lo, 1, v31
	v_and_b32_e32 v9, 0xffff, v9
	v_lshrrev_b32_e32 v32, v8, v27
	v_and_or_b32 v23, 0x8000, v24, v22
	v_cndmask_b32_e32 v29, v21, v6, vcc_lo
	v_add_co_u32 v14, vcc_lo, v19, s5
	v_lshlrev_b32_e32 v8, v8, v32
	v_add_co_ci_u32_e32 v15, vcc_lo, s4, v20, vcc_lo
	v_mul_f64 v[5:6], v[4:5], s[2:3]
	v_and_b32_e32 v4, 7, v29
	v_cmp_ne_u32_e32 vcc_lo, v8, v27
	v_cvt_f64_f32_e32 v[21:22], v2
	v_add_nc_u32_e32 v24, 0xfffffc10, v30
	v_lshl_or_b32 v2, v23, 16, v9
	v_cmp_eq_u32_e64 s0, 3, v4
	v_cndmask_b32_e64 v8, 0, 1, vcc_lo
	v_cmp_lt_i32_e32 vcc_lo, 5, v4
	v_lshrrev_b32_e32 v4, 2, v29
	v_lshl_or_b32 v9, v24, 12, v28
	v_cmp_gt_i32_e64 s1, 1, v24
	v_or_b32_e32 v8, v32, v8
	s_or_b32 vcc_lo, s0, vcc_lo
	global_store_dword v[19:20], v16, off
	global_store_dword v[14:15], v25, off
	v_add_co_ci_u32_e32 v4, vcc_lo, 0, v4, vcc_lo
	v_cmp_ne_u32_e32 vcc_lo, 0, v26
	v_cndmask_b32_e64 v16, v9, v8, s1
	ds_read2_b32 v[8:9], v71 offset0:90 offset1:95
	v_lshrrev_b32_e32 v30, 16, v10
	v_cndmask_b32_e64 v19, 0, 1, vcc_lo
	v_and_or_b32 v5, 0x1ff, v6, v5
	v_cmp_gt_i32_e32 vcc_lo, 31, v31
	v_and_b32_e32 v23, 7, v16
	v_lshrrev_b32_e32 v16, 2, v16
	v_lshl_or_b32 v25, v19, 9, 0x7c00
	v_mul_f64 v[19:20], v[21:22], s[2:3]
	v_cndmask_b32_e32 v4, 0x7c00, v4, vcc_lo
	v_cmp_ne_u32_e32 vcc_lo, 0, v5
	v_cmp_eq_u32_e64 s0, 3, v23
	v_lshrrev_b32_e32 v21, 8, v6
	v_bfe_u32 v22, v6, 20, 11
	v_lshrrev_b32_e32 v6, 16, v6
	v_cndmask_b32_e64 v5, 0, 1, vcc_lo
	v_cmp_lt_i32_e32 vcc_lo, 5, v23
	v_and_or_b32 v23, 0xffe, v21, v5
	s_or_b32 vcc_lo, s0, vcc_lo
	v_sub_nc_u32_e32 v5, 0x3f1, v22
	v_add_co_ci_u32_e32 v16, vcc_lo, 0, v16, vcc_lo
	v_cmp_eq_u32_e32 vcc_lo, 0x40f, v31
	s_waitcnt lgkmcnt(0)
	v_lshrrev_b32_e32 v21, 16, v8
	v_or_b32_e32 v26, 0x1000, v23
	v_med3_i32 v5, v5, 0, 13
	v_cndmask_b32_e32 v25, v4, v25, vcc_lo
	v_cmp_ne_u32_e32 vcc_lo, 0, v28
	v_mul_f16_sdwa v27, v84, v21 dst_sel:DWORD dst_unused:UNUSED_PAD src0_sel:WORD_1 src1_sel:DWORD
	v_lshrrev_b32_e32 v28, v5, v26
	v_and_or_b32 v19, 0x1ff, v20, v19
	v_cndmask_b32_e64 v4, 0, 1, vcc_lo
	v_cmp_gt_i32_e32 vcc_lo, 31, v24
	v_fmac_f16_e32 v27, v84, v8
	v_lshlrev_b32_e32 v29, v5, v28
	v_mul_f16_sdwa v8, v84, v8 dst_sel:DWORD dst_unused:UNUSED_PAD src0_sel:WORD_1 src1_sel:DWORD
	v_lshl_or_b32 v4, v4, 9, 0x7c00
	v_cndmask_b32_e32 v16, 0x7c00, v16, vcc_lo
	v_cmp_eq_u32_e32 vcc_lo, 0x40f, v24
	v_cvt_f32_f16_e32 v27, v27
	v_lshrrev_b32_e32 v24, 8, v20
	v_cndmask_b32_e32 v16, v16, v4, vcc_lo
	v_cmp_ne_u32_e32 vcc_lo, 0, v19
	v_cvt_f64_f32_e32 v[4:5], v27
	v_bfe_u32 v27, v20, 20, 11
	v_lshrrev_b32_e32 v20, 16, v20
	v_and_or_b32 v16, 0x8000, v30, v16
	v_cndmask_b32_e64 v19, 0, 1, vcc_lo
	v_cmp_ne_u32_e32 vcc_lo, v29, v26
	v_add_nc_u32_e32 v26, 0xfffffc10, v22
	v_sub_nc_u32_e32 v22, 0x3f1, v27
	v_and_or_b32 v19, 0xffe, v24, v19
	v_cndmask_b32_e64 v10, 0, 1, vcc_lo
	v_and_or_b32 v24, 0x8000, v11, v25
	v_med3_i32 v22, v22, 0, 13
	v_or_b32_e32 v29, 0x1000, v19
	v_or_b32_e32 v25, v28, v10
	v_add_co_u32 v10, vcc_lo, v14, s5
	v_add_co_ci_u32_e32 v11, vcc_lo, s4, v15, vcc_lo
	v_lshl_or_b32 v28, v26, 12, v23
	v_cmp_gt_i32_e32 vcc_lo, 1, v26
	v_mul_f64 v[14:15], v[4:5], s[2:3]
	v_fma_f16 v4, v84, v21, -v8
	v_and_b32_e32 v24, 0xffff, v24
	global_store_dword v[10:11], v2, off
	v_cndmask_b32_e32 v25, v28, v25, vcc_lo
	v_lshrrev_b32_e32 v28, v22, v29
	v_cvt_f32_f16_e32 v4, v4
	v_lshl_or_b32 v2, v16, 16, v24
	v_add_nc_u32_e32 v16, 0xfffffc10, v27
	v_and_b32_e32 v5, 7, v25
	v_lshlrev_b32_e32 v8, v22, v28
	v_lshrrev_b32_e32 v24, 2, v25
	v_cvt_f64_f32_e32 v[21:22], v4
	v_lshl_or_b32 v25, v16, 12, v19
	v_cmp_lt_i32_e32 vcc_lo, 5, v5
	v_cmp_ne_u32_e64 s0, v8, v29
	v_cndmask_b32_e64 v8, 0, 1, s0
	v_cmp_eq_u32_e64 s0, 3, v5
	ds_read2_b32 v[4:5], v71 offset0:100 offset1:105
	v_and_or_b32 v14, 0x1ff, v15, v14
	v_lshrrev_b32_e32 v27, 8, v15
	v_or_b32_e32 v8, v28, v8
	s_or_b32 vcc_lo, s0, vcc_lo
	v_bfe_u32 v28, v15, 20, 11
	v_add_co_ci_u32_e32 v24, vcc_lo, 0, v24, vcc_lo
	v_cmp_ne_u32_e32 vcc_lo, 0, v23
	v_mul_f64 v[21:22], v[21:22], s[2:3]
	v_cndmask_b32_e64 v23, 0, 1, vcc_lo
	v_cmp_gt_i32_e32 vcc_lo, 1, v16
	v_lshl_or_b32 v23, v23, 9, 0x7c00
	v_cndmask_b32_e32 v8, v25, v8, vcc_lo
	v_cmp_gt_i32_e32 vcc_lo, 31, v26
	v_and_b32_e32 v25, 7, v8
	v_cndmask_b32_e32 v24, 0x7c00, v24, vcc_lo
	v_cmp_ne_u32_e32 vcc_lo, 0, v14
	v_lshrrev_b32_e32 v8, 2, v8
	v_cmp_eq_u32_e64 s0, 3, v25
	v_cndmask_b32_e64 v14, 0, 1, vcc_lo
	v_cmp_eq_u32_e32 vcc_lo, 0x40f, v26
	v_and_or_b32 v21, 0x1ff, v22, v21
	v_and_or_b32 v14, 0xffe, v27, v14
	v_cndmask_b32_e32 v26, v24, v23, vcc_lo
	v_cmp_lt_i32_e32 vcc_lo, 5, v25
	s_waitcnt lgkmcnt(0)
	v_lshrrev_b32_e32 v27, 16, v5
	v_sub_nc_u32_e32 v23, 0x3f1, v28
	v_or_b32_e32 v25, 0x1000, v14
	v_add_nc_u32_e32 v28, 0xfffffc10, v28
	s_or_b32 vcc_lo, s0, vcc_lo
	v_mul_f16_sdwa v24, v83, v27 dst_sel:DWORD dst_unused:UNUSED_PAD src0_sel:WORD_1 src1_sel:DWORD
	v_add_co_ci_u32_e32 v8, vcc_lo, 0, v8, vcc_lo
	v_cmp_ne_u32_e32 vcc_lo, 0, v19
	v_med3_i32 v23, v23, 0, 13
	v_fmac_f16_e32 v24, v83, v5
	v_mul_f16_sdwa v5, v83, v5 dst_sel:DWORD dst_unused:UNUSED_PAD src0_sel:WORD_1 src1_sel:DWORD
	v_and_or_b32 v6, 0x8000, v6, v26
	v_cndmask_b32_e64 v19, 0, 1, vcc_lo
	v_cmp_gt_i32_e32 vcc_lo, 31, v16
	v_lshrrev_b32_e32 v29, v23, v25
	v_cvt_f32_f16_e32 v24, v24
	v_lshl_or_b32 v19, v19, 9, 0x7c00
	v_cndmask_b32_e32 v8, 0x7c00, v8, vcc_lo
	v_cmp_eq_u32_e32 vcc_lo, 0x40f, v16
	v_lshlrev_b32_e32 v30, v23, v29
	v_cvt_f64_f32_e32 v[23:24], v24
	v_cndmask_b32_e32 v8, v8, v19, vcc_lo
	v_cmp_ne_u32_e32 vcc_lo, 0, v21
	v_lshrrev_b32_e32 v19, 8, v22
	v_bfe_u32 v21, v22, 20, 11
	v_lshrrev_b32_e32 v22, 16, v22
	v_and_or_b32 v8, 0x8000, v20, v8
	v_cndmask_b32_e64 v16, 0, 1, vcc_lo
	v_cmp_ne_u32_e32 vcc_lo, v30, v25
	v_and_or_b32 v16, 0xffe, v19, v16
	v_cndmask_b32_e64 v25, 0, 1, vcc_lo
	v_sub_nc_u32_e32 v19, 0x3f1, v21
	v_cmp_gt_i32_e32 vcc_lo, 1, v28
	v_add_nc_u32_e32 v21, 0xfffffc10, v21
	v_or_b32_e32 v26, 0x1000, v16
	v_or_b32_e32 v20, v29, v25
	v_lshl_or_b32 v25, v28, 12, v14
	v_med3_i32 v29, v19, 0, 13
	v_cndmask_b32_e32 v25, v25, v20, vcc_lo
	v_mul_f64 v[19:20], v[23:24], s[2:3]
	v_fma_f16 v24, v83, v27, -v5
	v_lshrrev_b32_e32 v30, v29, v26
	v_add_co_u32 v5, vcc_lo, v10, s5
	v_and_b32_e32 v27, 7, v25
	v_and_b32_e32 v23, 0xffff, v6
	v_cvt_f32_f16_e32 v10, v24
	v_add_co_ci_u32_e32 v6, vcc_lo, s4, v11, vcc_lo
	v_lshlrev_b32_e32 v11, v29, v30
	v_cmp_lt_i32_e32 vcc_lo, 5, v27
	v_cmp_eq_u32_e64 s0, 3, v27
	v_lshl_or_b32 v8, v8, 16, v23
	v_cvt_f64_f32_e32 v[23:24], v10
	v_lshrrev_b32_e32 v10, 2, v25
	v_cmp_ne_u32_e64 s1, v11, v26
	s_or_b32 vcc_lo, s0, vcc_lo
	v_lshl_or_b32 v27, v21, 12, v16
	global_store_dword v[5:6], v2, off
	v_add_co_ci_u32_e32 v25, vcc_lo, 0, v10, vcc_lo
	v_cndmask_b32_e64 v11, 0, 1, s1
	v_cmp_ne_u32_e32 vcc_lo, 0, v14
	v_and_or_b32 v19, 0x1ff, v20, v19
	v_bfe_u32 v29, v20, 20, 11
	v_or_b32_e32 v26, v30, v11
	v_cndmask_b32_e64 v14, 0, 1, vcc_lo
	v_cmp_gt_i32_e32 vcc_lo, 1, v21
	ds_read2_b32 v[10:11], v71 offset0:120 offset1:125
	v_sub_nc_u32_e32 v32, 0x3f1, v29
	v_add_nc_u32_e32 v29, 0xfffffc10, v29
	v_lshl_or_b32 v14, v14, 9, 0x7c00
	v_cndmask_b32_e32 v27, v27, v26, vcc_lo
	v_cmp_ne_u32_e32 vcc_lo, 0, v19
	v_lshrrev_b32_e32 v26, 8, v20
	v_mul_f64 v[23:24], v[23:24], s[2:3]
	v_and_b32_e32 v31, 7, v27
	v_cndmask_b32_e64 v19, 0, 1, vcc_lo
	v_cmp_gt_i32_e32 vcc_lo, 31, v28
	v_cmp_eq_u32_e64 s0, 3, v31
	v_and_or_b32 v19, 0xffe, v26, v19
	v_cndmask_b32_e32 v30, 0x7c00, v25, vcc_lo
	v_add_co_u32 v25, vcc_lo, v5, s5
	v_add_co_ci_u32_e32 v26, vcc_lo, s4, v6, vcc_lo
	v_cmp_eq_u32_e32 vcc_lo, 0x40f, v28
	s_waitcnt lgkmcnt(0)
	v_lshrrev_b32_e32 v33, 16, v10
	ds_read2_b32 v[5:6], v71 offset0:130 offset1:135
	global_store_dword v[25:26], v8, off
	v_cndmask_b32_e32 v28, v30, v14, vcc_lo
	v_cmp_lt_i32_e32 vcc_lo, 5, v31
	v_lshrrev_b32_e32 v31, 16, v15
	v_lshrrev_b32_e32 v15, 2, v27
	v_med3_i32 v14, v32, 0, 13
	v_mul_f16_sdwa v32, v82, v33 dst_sel:DWORD dst_unused:UNUSED_PAD src0_sel:WORD_1 src1_sel:DWORD
	s_or_b32 vcc_lo, s0, vcc_lo
	v_or_b32_e32 v30, 0x1000, v19
	v_add_co_ci_u32_e32 v15, vcc_lo, 0, v15, vcc_lo
	v_fmac_f16_e32 v32, v82, v10
	v_cmp_ne_u32_e32 vcc_lo, 0, v16
	v_lshrrev_b32_e32 v27, v14, v30
	v_and_or_b32 v23, 0x1ff, v24, v23
	v_bfe_u32 v36, v24, 20, 11
	v_cvt_f32_f16_e32 v32, v32
	v_cndmask_b32_e64 v16, 0, 1, vcc_lo
	v_cmp_gt_i32_e32 vcc_lo, 31, v21
	v_lshlrev_b32_e32 v34, v14, v27
	v_mul_f16_sdwa v10, v82, v10 dst_sel:DWORD dst_unused:UNUSED_PAD src0_sel:WORD_1 src1_sel:DWORD
	v_and_or_b32 v28, 0x8000, v31, v28
	v_lshl_or_b32 v16, v16, 9, 0x7c00
	v_cndmask_b32_e32 v35, 0x7c00, v15, vcc_lo
	v_cvt_f64_f32_e32 v[14:15], v32
	v_cmp_ne_u32_e32 vcc_lo, 0, v23
	v_lshrrev_b32_e32 v32, 8, v24
	v_fma_f16 v10, v82, v33, -v10
	v_and_b32_e32 v28, 0xffff, v28
	v_cndmask_b32_e64 v23, 0, 1, vcc_lo
	v_cmp_ne_u32_e32 vcc_lo, v34, v30
	v_cvt_f32_f16_e32 v10, v10
	v_and_or_b32 v23, 0xffe, v32, v23
	v_cndmask_b32_e64 v30, 0, 1, vcc_lo
	v_sub_nc_u32_e32 v32, 0x3f1, v36
	v_cmp_eq_u32_e32 vcc_lo, 0x40f, v21
	v_or_b32_e32 v21, v27, v30
	v_or_b32_e32 v27, 0x1000, v23
	v_med3_i32 v30, v32, 0, 13
	v_cndmask_b32_e32 v16, v35, v16, vcc_lo
	v_lshl_or_b32 v32, v29, 12, v19
	v_cmp_gt_i32_e32 vcc_lo, 1, v29
	v_mul_f64 v[14:15], v[14:15], s[2:3]
	v_lshrrev_b32_e32 v31, v30, v27
	v_and_or_b32 v16, 0x8000, v22, v16
	v_cndmask_b32_e32 v32, v32, v21, vcc_lo
	v_cvt_f64_f32_e32 v[21:22], v10
	v_lshlrev_b32_e32 v2, v30, v31
	v_lshl_or_b32 v8, v16, 16, v28
	v_add_nc_u32_e32 v10, 0xfffffc10, v36
	v_and_b32_e32 v33, 7, v32
	v_lshrrev_b32_e32 v16, 2, v32
	v_cmp_ne_u32_e64 s1, v2, v27
	v_lshl_or_b32 v27, v10, 12, v23
	v_cmp_lt_i32_e32 vcc_lo, 5, v33
	v_cmp_eq_u32_e64 s0, 3, v33
	v_cndmask_b32_e64 v2, 0, 1, s1
	v_add_co_u32 v25, s1, v25, s5
	v_add_co_ci_u32_e64 v26, s1, s4, v26, s1
	s_or_b32 vcc_lo, s0, vcc_lo
	v_or_b32_e32 v2, v31, v2
	v_add_co_ci_u32_e32 v16, vcc_lo, 0, v16, vcc_lo
	v_and_or_b32 v14, 0x1ff, v15, v14
	v_cmp_gt_i32_e32 vcc_lo, 1, v10
	v_mul_f64 v[21:22], v[21:22], s[2:3]
	v_bfe_u32 v30, v15, 20, 11
	s_waitcnt lgkmcnt(0)
	v_lshrrev_b32_e32 v31, 16, v6
	global_store_dword v[25:26], v8, off
	v_cndmask_b32_e32 v2, v27, v2, vcc_lo
	v_cmp_ne_u32_e32 vcc_lo, 0, v14
	v_lshrrev_b32_e32 v27, 8, v15
	v_mul_f16_sdwa v33, v81, v31 dst_sel:DWORD dst_unused:UNUSED_PAD src0_sel:WORD_1 src1_sel:DWORD
	v_and_b32_e32 v28, 7, v2
	v_cndmask_b32_e64 v14, 0, 1, vcc_lo
	v_cmp_ne_u32_e32 vcc_lo, 0, v19
	v_lshrrev_b32_e32 v2, 2, v2
	v_fmac_f16_e32 v33, v81, v6
	v_cmp_eq_u32_e64 s0, 3, v28
	v_and_or_b32 v14, 0xffe, v27, v14
	v_cndmask_b32_e64 v19, 0, 1, vcc_lo
	v_cmp_gt_i32_e32 vcc_lo, 31, v29
	v_sub_nc_u32_e32 v27, 0x3f1, v30
	v_add_nc_u32_e32 v30, 0xfffffc10, v30
	v_or_b32_e32 v32, 0x1000, v14
	v_lshl_or_b32 v19, v19, 9, 0x7c00
	v_cndmask_b32_e32 v16, 0x7c00, v16, vcc_lo
	v_cmp_lt_i32_e32 vcc_lo, 5, v28
	v_med3_i32 v27, v27, 0, 13
	v_and_or_b32 v21, 0x1ff, v22, v21
	v_bfe_u32 v36, v22, 20, 11
	v_mul_f16_sdwa v6, v81, v6 dst_sel:DWORD dst_unused:UNUSED_PAD src0_sel:WORD_1 src1_sel:DWORD
	s_or_b32 vcc_lo, s0, vcc_lo
	v_lshrrev_b32_e32 v34, v27, v32
	v_add_co_ci_u32_e32 v2, vcc_lo, 0, v2, vcc_lo
	v_cmp_gt_i32_e32 vcc_lo, 31, v10
	v_fma_f16 v6, v81, v31, -v6
	v_lshlrev_b32_e32 v35, v27, v34
	v_cvt_f32_f16_e32 v27, v33
	v_lshrrev_b32_e32 v33, 8, v22
	v_cndmask_b32_e32 v2, 0x7c00, v2, vcc_lo
	v_cmp_ne_u32_e32 vcc_lo, 0, v21
	v_cvt_f32_f16_e32 v6, v6
	v_cvt_f64_f32_e32 v[27:28], v27
	v_cndmask_b32_e64 v21, 0, 1, vcc_lo
	v_cmp_ne_u32_e32 vcc_lo, v35, v32
	v_and_or_b32 v21, 0xffe, v33, v21
	v_cndmask_b32_e64 v32, 0, 1, vcc_lo
	v_cmp_ne_u32_e32 vcc_lo, 0, v23
	v_sub_nc_u32_e32 v33, 0x3f1, v36
	v_or_b32_e32 v35, 0x1000, v21
	v_or_b32_e32 v32, v34, v32
	v_cndmask_b32_e64 v23, 0, 1, vcc_lo
	v_cmp_eq_u32_e32 vcc_lo, 0x40f, v29
	v_lshl_or_b32 v34, v30, 12, v14
	v_med3_i32 v33, v33, 0, 13
	v_lshl_or_b32 v23, v23, 9, 0x7c00
	v_cndmask_b32_e32 v16, v16, v19, vcc_lo
	v_cmp_gt_i32_e32 vcc_lo, 1, v30
	v_cndmask_b32_e32 v29, v34, v32, vcc_lo
	v_cmp_eq_u32_e32 vcc_lo, 0x40f, v10
	v_lshrrev_b32_e32 v32, v33, v35
	v_lshrrev_b32_e32 v34, 16, v20
	v_mul_f64 v[19:20], v[27:28], s[2:3]
	v_lshrrev_b32_e32 v10, 16, v24
	v_cndmask_b32_e32 v2, v2, v23, vcc_lo
	v_and_b32_e32 v23, 7, v29
	v_lshlrev_b32_e32 v24, v33, v32
	v_lshrrev_b32_e32 v8, 2, v29
	v_add_nc_u32_e32 v29, 0xfffffc10, v36
	v_and_or_b32 v2, 0x8000, v10, v2
	v_cmp_lt_i32_e32 vcc_lo, 5, v23
	v_cmp_eq_u32_e64 s0, 3, v23
	v_cmp_ne_u32_e64 s1, v24, v35
	v_lshl_or_b32 v27, v29, 12, v21
	v_cvt_f64_f32_e32 v[23:24], v6
	v_and_or_b32 v16, 0x8000, v34, v16
	s_or_b32 vcc_lo, s0, vcc_lo
	v_cndmask_b32_e64 v10, 0, 1, s1
	v_add_co_ci_u32_e32 v8, vcc_lo, 0, v8, vcc_lo
	v_cmp_ne_u32_e32 vcc_lo, 0, v14
	v_and_b32_e32 v16, 0xffff, v16
	v_or_b32_e32 v10, v32, v10
	v_lshrrev_b32_e32 v33, 16, v13
	v_and_or_b32 v6, 0x1ff, v20, v19
	v_cndmask_b32_e64 v14, 0, 1, vcc_lo
	v_cmp_gt_i32_e32 vcc_lo, 1, v29
	v_bfe_u32 v31, v20, 20, 11
	v_lshrrev_b32_e32 v34, 16, v22
	v_lshl_or_b32 v14, v14, 9, 0x7c00
	v_cndmask_b32_e32 v10, v27, v10, vcc_lo
	v_cmp_gt_i32_e32 vcc_lo, 31, v30
	v_lshrrev_b32_e32 v27, 8, v20
	v_and_b32_e32 v19, 7, v10
	v_cndmask_b32_e32 v8, 0x7c00, v8, vcc_lo
	v_cmp_ne_u32_e32 vcc_lo, 0, v6
	v_mul_f64 v[23:24], v[23:24], s[2:3]
	v_cmp_eq_u32_e64 s0, 3, v19
	v_cndmask_b32_e64 v6, 0, 1, vcc_lo
	v_cmp_lt_i32_e32 vcc_lo, 5, v19
	v_lshl_or_b32 v19, v2, 16, v16
	v_lshrrev_b32_e32 v2, 2, v10
	v_sub_nc_u32_e32 v10, 0x3f1, v31
	v_and_or_b32 v6, 0xffe, v27, v6
	s_or_b32 vcc_lo, s0, vcc_lo
	v_mad_u64_u32 v[27:28], null, s8, v78, 0
	v_add_co_ci_u32_e32 v2, vcc_lo, 0, v2, vcc_lo
	v_cmp_ne_u32_e32 vcc_lo, 0, v21
	v_or_b32_e32 v32, 0x1000, v6
	v_med3_i32 v10, v10, 0, 13
	v_add_nc_u32_e32 v31, 0xfffffc10, v31
	v_cndmask_b32_e64 v16, 0, 1, vcc_lo
	v_cmp_eq_u32_e32 vcc_lo, 0x40f, v30
	v_lshrrev_b32_e32 v30, v10, v32
	v_and_or_b32 v23, 0x1ff, v24, v23
	v_lshl_or_b32 v21, v16, 9, 0x7c00
	v_cndmask_b32_e32 v8, v8, v14, vcc_lo
	v_cmp_gt_i32_e32 vcc_lo, 31, v29
	v_lshrrev_b32_e32 v14, 16, v15
	v_lshlrev_b32_e32 v10, v10, v30
	v_cndmask_b32_e32 v2, 0x7c00, v2, vcc_lo
	v_add_co_u32 v15, vcc_lo, v25, s5
	v_add_co_ci_u32_e32 v16, vcc_lo, s4, v26, vcc_lo
	v_and_or_b32 v8, 0x8000, v14, v8
	v_mul_f16_sdwa v14, v80, v33 dst_sel:DWORD dst_unused:UNUSED_PAD src0_sel:WORD_1 src1_sel:DWORD
	v_cmp_eq_u32_e32 vcc_lo, 0x40f, v29
	v_lshrrev_b32_e32 v25, 8, v24
	global_store_dword v[15:16], v19, off
	v_and_b32_e32 v8, 0xffff, v8
	v_fmac_f16_e32 v14, v80, v13
	v_cndmask_b32_e32 v29, v2, v21, vcc_lo
	v_cmp_ne_u32_e32 vcc_lo, v10, v32
	v_bfe_u32 v32, v24, 20, 11
	v_mov_b32_e32 v2, v28
	v_cvt_f32_f16_e32 v14, v14
	v_cndmask_b32_e64 v10, 0, 1, vcc_lo
	v_cmp_ne_u32_e32 vcc_lo, 0, v23
	v_sub_nc_u32_e32 v28, 0x3f1, v32
	v_cvt_f64_f32_e32 v[21:22], v14
	v_lshl_or_b32 v14, v31, 12, v6
	v_or_b32_e32 v10, v30, v10
	v_cndmask_b32_e64 v23, 0, 1, vcc_lo
	v_cmp_gt_i32_e32 vcc_lo, 1, v31
	v_and_or_b32 v23, 0xffe, v25, v23
	v_mad_u64_u32 v[25:26], null, s9, v78, v[2:3]
	v_cndmask_b32_e32 v2, v14, v10, vcc_lo
	v_mul_f16_sdwa v10, v80, v13 dst_sel:DWORD dst_unused:UNUSED_PAD src0_sel:WORD_1 src1_sel:DWORD
	v_or_b32_e32 v13, 0x1000, v23
	v_med3_i32 v14, v28, 0, 13
	v_and_or_b32 v26, 0x8000, v34, v29
	v_and_b32_e32 v29, 7, v2
	v_fma_f16 v10, v80, v33, -v10
	v_mov_b32_e32 v28, v25
	v_lshrrev_b32_e32 v30, v14, v13
	v_lshl_or_b32 v8, v26, 16, v8
	v_cmp_lt_i32_e32 vcc_lo, 5, v29
	v_cvt_f32_f16_e32 v10, v10
	v_mul_f64 v[21:22], v[21:22], s[2:3]
	v_lshlrev_b32_e32 v14, v14, v30
	v_cmp_eq_u32_e64 s0, 3, v29
	v_lshrrev_b32_e32 v2, 2, v2
	v_cvt_f64_f32_e32 v[25:26], v10
	v_add_nc_u32_e32 v29, 0xfffffc10, v32
	v_cmp_ne_u32_e64 s1, v14, v13
	s_or_b32 vcc_lo, s0, vcc_lo
	ds_read2_b32 v[13:14], v71 offset0:20 offset1:25
	v_add_co_ci_u32_e32 v2, vcc_lo, 0, v2, vcc_lo
	v_cndmask_b32_e64 v10, 0, 1, s1
	v_cmp_ne_u32_e32 vcc_lo, 0, v6
	v_lshl_or_b32 v19, v29, 12, v23
	v_lshlrev_b64 v[27:28], 2, v[27:28]
	v_or_b32_e32 v10, v30, v10
	v_cndmask_b32_e64 v6, 0, 1, vcc_lo
	v_cmp_gt_i32_e32 vcc_lo, 1, v29
	v_lshl_or_b32 v6, v6, 9, 0x7c00
	v_cndmask_b32_e32 v10, v19, v10, vcc_lo
	v_cmp_gt_i32_e32 vcc_lo, 31, v31
	v_and_or_b32 v19, 0x1ff, v22, v21
	v_mul_f64 v[25:26], v[25:26], s[2:3]
	v_and_b32_e32 v21, 7, v10
	v_cndmask_b32_e32 v2, 0x7c00, v2, vcc_lo
	v_add_co_u32 v27, vcc_lo, v17, v27
	v_add_co_ci_u32_e32 v28, vcc_lo, v18, v28, vcc_lo
	v_cmp_eq_u32_e32 vcc_lo, 0x40f, v31
	v_cmp_ne_u32_e64 s0, 0, v19
	v_lshrrev_b32_e32 v10, 2, v10
	s_waitcnt lgkmcnt(0)
	v_lshrrev_b32_e32 v30, 16, v13
	v_bfe_u32 v31, v22, 20, 11
	v_cndmask_b32_e32 v2, v2, v6, vcc_lo
	v_cmp_lt_i32_e32 vcc_lo, 5, v21
	v_cndmask_b32_e64 v19, 0, 1, s0
	v_cmp_eq_u32_e64 s0, 3, v21
	v_lshrrev_b32_e32 v6, 16, v20
	v_lshrrev_b32_e32 v20, 8, v22
	v_mul_f16_sdwa v32, v79, v30 dst_sel:DWORD dst_unused:UNUSED_PAD src0_sel:WORD_1 src1_sel:DWORD
	v_lshrrev_b32_e32 v22, 16, v22
	s_or_b32 vcc_lo, s0, vcc_lo
	v_and_or_b32 v25, 0x1ff, v26, v25
	v_add_co_ci_u32_e32 v10, vcc_lo, 0, v10, vcc_lo
	v_and_or_b32 v21, 0xffe, v20, v19
	v_sub_nc_u32_e32 v19, 0x3f1, v31
	v_cmp_ne_u32_e32 vcc_lo, 0, v23
	v_fmac_f16_e32 v32, v79, v13
	v_lshrrev_b32_e32 v35, 8, v26
	v_or_b32_e32 v33, 0x1000, v21
	v_med3_i32 v34, v19, 0, 13
	v_cndmask_b32_e64 v23, 0, 1, vcc_lo
	v_cmp_gt_i32_e32 vcc_lo, 31, v29
	v_cvt_f32_f16_e32 v19, v32
	v_bfe_u32 v36, v26, 20, 11
	v_lshrrev_b32_e32 v32, v34, v33
	v_lshl_or_b32 v23, v23, 9, 0x7c00
	v_cndmask_b32_e32 v10, 0x7c00, v10, vcc_lo
	v_cmp_ne_u32_e32 vcc_lo, 0, v25
	v_cvt_f64_f32_e32 v[19:20], v19
	v_lshlrev_b32_e32 v34, v34, v32
	v_add_nc_u32_e32 v31, 0xfffffc10, v31
	v_and_or_b32 v2, 0x8000, v6, v2
	v_cndmask_b32_e64 v25, 0, 1, vcc_lo
	v_cmp_eq_u32_e32 vcc_lo, 0x40f, v29
	v_mul_f16_sdwa v13, v79, v13 dst_sel:DWORD dst_unused:UNUSED_PAD src0_sel:WORD_1 src1_sel:DWORD
	s_mul_i32 s0, s9, 0x78
	v_and_b32_e32 v2, 0xffff, v2
	v_and_or_b32 v25, 0xffe, v35, v25
	v_cndmask_b32_e32 v10, v10, v23, vcc_lo
	v_lshrrev_b32_e32 v23, 16, v24
	v_sub_nc_u32_e32 v24, 0x3f1, v36
	v_cmp_ne_u32_e32 vcc_lo, v34, v33
	v_or_b32_e32 v33, 0x1000, v25
	v_fma_f16 v13, v79, v30, -v13
	v_and_or_b32 v6, 0x8000, v23, v10
	v_med3_i32 v24, v24, 0, 13
	v_cndmask_b32_e64 v29, 0, 1, vcc_lo
	v_lshl_or_b32 v23, v31, 12, v21
	v_cmp_gt_i32_e32 vcc_lo, 1, v31
	s_add_i32 s6, s6, s0
	v_mul_f64 v[19:20], v[19:20], s[2:3]
	v_or_b32_e32 v10, v32, v29
	v_lshrrev_b32_e32 v29, v24, v33
	v_lshl_or_b32 v2, v6, 16, v2
	v_cvt_f32_f16_e32 v6, v13
	v_cmp_eq_u32_e64 s1, 0x40f, v31
	v_cndmask_b32_e32 v10, v23, v10, vcc_lo
	v_lshlrev_b32_e32 v23, v24, v29
	global_store_dword v[27:28], v8, off
	v_mul_f16_sdwa v8, v77, v12 dst_sel:DWORD dst_unused:UNUSED_PAD src0_sel:WORD_1 src1_sel:DWORD
	v_and_b32_e32 v30, 7, v10
	v_cmp_ne_u32_e64 s0, v23, v33
	v_cvt_f64_f32_e32 v[23:24], v6
	v_lshrrev_b32_e32 v10, 2, v10
	v_add_nc_u32_e32 v6, 0xfffffc10, v36
	v_cmp_lt_i32_e32 vcc_lo, 5, v30
	v_cndmask_b32_e64 v13, 0, 1, s0
	v_cmp_eq_u32_e64 s0, 3, v30
	v_or_b32_e32 v13, v29, v13
	s_or_b32 vcc_lo, s0, vcc_lo
	v_lshl_or_b32 v29, v6, 12, v25
	v_add_co_ci_u32_e32 v10, vcc_lo, 0, v10, vcc_lo
	v_cmp_gt_i32_e32 vcc_lo, 1, v6
	v_and_or_b32 v19, 0x1ff, v20, v19
	v_lshrrev_b32_e32 v30, 8, v20
	v_bfe_u32 v32, v20, 20, 11
	v_cndmask_b32_e32 v13, v29, v13, vcc_lo
	v_cmp_ne_u32_e32 vcc_lo, 0, v21
	v_mul_f64 v[23:24], v[23:24], s[2:3]
	v_and_b32_e32 v29, 7, v13
	v_cndmask_b32_e64 v21, 0, 1, vcc_lo
	v_cmp_gt_i32_e32 vcc_lo, 31, v31
	v_lshrrev_b32_e32 v13, 2, v13
	v_cmp_eq_u32_e64 s0, 3, v29
	v_lshl_or_b32 v21, v21, 9, 0x7c00
	v_cndmask_b32_e32 v10, 0x7c00, v10, vcc_lo
	v_cmp_ne_u32_e32 vcc_lo, 0, v19
	v_cndmask_b32_e64 v10, v10, v21, s1
	v_cndmask_b32_e64 v19, 0, 1, vcc_lo
	v_cmp_lt_i32_e32 vcc_lo, 5, v29
	v_and_or_b32 v10, 0x8000, v22, v10
	v_and_or_b32 v19, 0xffe, v30, v19
	s_or_b32 vcc_lo, s0, vcc_lo
	v_sub_nc_u32_e32 v30, 0x3f1, v32
	v_add_co_ci_u32_e32 v13, vcc_lo, 0, v13, vcc_lo
	v_cmp_ne_u32_e32 vcc_lo, 0, v25
	v_or_b32_e32 v21, 0x1000, v19
	v_med3_i32 v29, v30, 0, 13
	v_lshrrev_b32_e32 v30, 16, v12
	v_and_or_b32 v23, 0x1ff, v24, v23
	v_cndmask_b32_e64 v25, 0, 1, vcc_lo
	v_cmp_gt_i32_e32 vcc_lo, 31, v6
	v_lshrrev_b32_e32 v31, v29, v21
	v_mul_f16_sdwa v33, v77, v30 dst_sel:DWORD dst_unused:UNUSED_PAD src0_sel:WORD_1 src1_sel:DWORD
	v_add_nc_u32_e32 v32, 0xfffffc10, v32
	v_lshl_or_b32 v25, v25, 9, 0x7c00
	v_cndmask_b32_e32 v13, 0x7c00, v13, vcc_lo
	v_cmp_eq_u32_e32 vcc_lo, 0x40f, v6
	v_fmac_f16_e32 v33, v77, v12
	v_lshlrev_b32_e32 v29, v29, v31
	v_fma_f16 v8, v77, v30, -v8
	v_and_b32_e32 v10, 0xffff, v10
	v_cndmask_b32_e32 v6, v13, v25, vcc_lo
	v_cmp_ne_u32_e32 vcc_lo, 0, v23
	v_cvt_f32_f16_e32 v13, v33
	v_lshrrev_b32_e32 v25, 8, v24
	v_bfe_u32 v33, v24, 20, 11
	v_cvt_f32_f16_e32 v8, v8
	v_cndmask_b32_e64 v23, 0, 1, vcc_lo
	v_cmp_ne_u32_e32 vcc_lo, v29, v21
	v_cvt_f64_f32_e32 v[21:22], v13
	v_sub_nc_u32_e32 v13, 0x3f1, v33
	v_add_nc_u32_e32 v30, 0xfffffc10, v33
	v_and_or_b32 v23, 0xffe, v25, v23
	v_cndmask_b32_e64 v29, 0, 1, vcc_lo
	v_lshrrev_b32_e32 v25, 16, v26
	v_med3_i32 v13, v13, 0, 13
	v_add_co_u32 v15, vcc_lo, v15, s7
	v_or_b32_e32 v26, v31, v29
	v_or_b32_e32 v31, 0x1000, v23
	v_add_co_ci_u32_e32 v16, vcc_lo, s6, v16, vcc_lo
	v_lshl_or_b32 v29, v32, 12, v19
	v_cmp_gt_i32_e32 vcc_lo, 1, v32
	v_lshrrev_b32_e32 v34, v13, v31
	v_and_or_b32 v6, 0x8000, v25, v6
	v_cvt_f64_f32_e32 v[27:28], v8
	v_cmp_gt_i32_e64 s1, 1, v30
	v_cndmask_b32_e32 v29, v29, v26, vcc_lo
	v_lshlrev_b32_e32 v12, v13, v34
	v_lshl_or_b32 v6, v6, 16, v10
	v_mul_f64 v[21:22], v[21:22], s[2:3]
	v_mad_u64_u32 v[25:26], null, 0xfffffdf8, s8, v[15:16]
	v_cmp_ne_u32_e32 vcc_lo, v12, v31
	v_and_b32_e32 v13, 7, v29
	v_lshrrev_b32_e32 v8, 2, v29
	v_lshl_or_b32 v31, v30, 12, v23
	v_cndmask_b32_e64 v10, 0, 1, vcc_lo
	v_cmp_lt_i32_e32 vcc_lo, 5, v13
	v_cmp_eq_u32_e64 s0, 3, v13
	ds_read2_b32 v[12:13], v71 offset0:50 offset1:55
	v_add_nc_u32_e32 v26, s10, v26
	v_or_b32_e32 v10, v34, v10
	s_or_b32 vcc_lo, s0, vcc_lo
	v_add_co_ci_u32_e32 v8, vcc_lo, 0, v8, vcc_lo
	v_cndmask_b32_e64 v10, v31, v10, s1
	v_cmp_ne_u32_e32 vcc_lo, 0, v19
	v_mul_f64 v[27:28], v[27:28], s[2:3]
	v_and_or_b32 v21, 0x1ff, v22, v21
	v_bfe_u32 v33, v22, 20, 11
	v_and_b32_e32 v29, 7, v10
	v_cndmask_b32_e64 v19, 0, 1, vcc_lo
	v_cmp_gt_i32_e32 vcc_lo, 31, v32
	v_lshrrev_b32_e32 v10, 2, v10
	v_cmp_ne_u32_e64 s1, 0, v21
	v_cmp_eq_u32_e64 s0, 3, v29
	v_lshl_or_b32 v19, v19, 9, 0x7c00
	v_cndmask_b32_e32 v8, 0x7c00, v8, vcc_lo
	v_cmp_lt_i32_e32 vcc_lo, 5, v29
	s_waitcnt lgkmcnt(0)
	v_lshrrev_b32_e32 v31, 16, v12
	v_cndmask_b32_e64 v21, 0, 1, s1
	v_lshrrev_b32_e32 v29, 8, v22
	s_or_b32 vcc_lo, s0, vcc_lo
	v_mul_f16_sdwa v34, v76, v31 dst_sel:DWORD dst_unused:UNUSED_PAD src0_sel:WORD_1 src1_sel:DWORD
	v_add_co_ci_u32_e32 v10, vcc_lo, 0, v10, vcc_lo
	v_cmp_ne_u32_e32 vcc_lo, 0, v23
	v_and_or_b32 v21, 0xffe, v29, v21
	v_sub_nc_u32_e32 v29, 0x3f1, v33
	v_fmac_f16_e32 v34, v76, v12
	v_mul_f16_sdwa v12, v76, v12 dst_sel:DWORD dst_unused:UNUSED_PAD src0_sel:WORD_1 src1_sel:DWORD
	v_cndmask_b32_e64 v23, 0, 1, vcc_lo
	v_cmp_eq_u32_e32 vcc_lo, 0x40f, v32
	v_or_b32_e32 v35, 0x1000, v21
	v_med3_i32 v29, v29, 0, 13
	v_fma_f16 v12, v76, v31, -v12
	v_lshl_or_b32 v23, v23, 9, 0x7c00
	v_cndmask_b32_e32 v8, v8, v19, vcc_lo
	v_cmp_gt_i32_e32 vcc_lo, 31, v30
	v_cvt_f32_f16_e32 v19, v34
	v_lshrrev_b32_e32 v32, v29, v35
	v_lshrrev_b32_e32 v34, 16, v20
	v_add_nc_u32_e32 v33, 0xfffffc10, v33
	v_cndmask_b32_e32 v10, 0x7c00, v10, vcc_lo
	v_cmp_eq_u32_e32 vcc_lo, 0x40f, v30
	v_cvt_f64_f32_e32 v[19:20], v19
	v_and_or_b32 v8, 0x8000, v34, v8
	v_bfe_u32 v34, v28, 20, 11
	v_cvt_f32_f16_e32 v12, v12
	v_cndmask_b32_e32 v10, v10, v23, vcc_lo
	v_lshrrev_b32_e32 v23, 16, v24
	v_and_or_b32 v24, 0x1ff, v28, v27
	v_lshlrev_b32_e32 v27, v29, v32
	v_and_b32_e32 v8, 0xffff, v8
	v_cvt_f64_f32_e32 v[29:30], v12
	v_and_or_b32 v10, 0x8000, v23, v10
	v_cmp_ne_u32_e32 vcc_lo, 0, v24
	v_lshrrev_b32_e32 v24, 8, v28
	v_cmp_eq_u32_e64 s1, 0x40f, v33
	v_lshl_or_b32 v8, v10, 16, v8
	v_cndmask_b32_e64 v23, 0, 1, vcc_lo
	v_cmp_ne_u32_e32 vcc_lo, v27, v35
	v_and_or_b32 v35, 0xffe, v24, v23
	v_cndmask_b32_e64 v27, 0, 1, vcc_lo
	v_sub_nc_u32_e32 v23, 0x3f1, v34
	v_cmp_gt_i32_e32 vcc_lo, 1, v33
	v_mul_f64 v[19:20], v[19:20], s[2:3]
	v_or_b32_e32 v24, v32, v27
	v_or_b32_e32 v32, 0x1000, v35
	v_med3_i32 v36, v23, 0, 13
	v_lshl_or_b32 v27, v33, 12, v21
	v_lshrrev_b32_e32 v10, v36, v32
	v_cndmask_b32_e32 v27, v27, v24, vcc_lo
	v_add_co_u32 v23, vcc_lo, v25, s5
	v_add_co_ci_u32_e32 v24, vcc_lo, s4, v26, vcc_lo
	v_lshlrev_b32_e32 v31, v36, v10
	v_and_b32_e32 v12, 7, v27
	global_store_dword v[15:16], v2, off
	global_store_dword v[25:26], v6, off
	;; [unrolled: 1-line block ×3, first 2 shown]
	v_lshrrev_b32_e32 v8, 2, v27
	v_add_nc_u32_e32 v6, 0xfffffc10, v34
	v_cmp_ne_u32_e64 s0, v31, v32
	v_cmp_lt_i32_e32 vcc_lo, 5, v12
	v_mul_f64 v[15:16], v[29:30], s[2:3]
	v_lshrrev_b32_e32 v27, 16, v7
	v_cndmask_b32_e64 v2, 0, 1, s0
	v_cmp_eq_u32_e64 s0, 3, v12
	v_and_or_b32 v12, 0x1ff, v20, v19
	v_bfe_u32 v19, v20, 20, 11
	v_mul_f16_sdwa v26, v75, v27 dst_sel:DWORD dst_unused:UNUSED_PAD src0_sel:WORD_1 src1_sel:DWORD
	v_or_b32_e32 v2, v10, v2
	s_or_b32 vcc_lo, s0, vcc_lo
	v_lshl_or_b32 v10, v6, 12, v35
	v_add_co_ci_u32_e32 v8, vcc_lo, 0, v8, vcc_lo
	v_cmp_gt_i32_e32 vcc_lo, 1, v6
	v_fmac_f16_e32 v26, v75, v7
	v_mul_f16_sdwa v7, v75, v7 dst_sel:DWORD dst_unused:UNUSED_PAD src0_sel:WORD_1 src1_sel:DWORD
	v_cndmask_b32_e32 v2, v10, v2, vcc_lo
	v_cmp_ne_u32_e32 vcc_lo, 0, v12
	v_lshrrev_b32_e32 v12, 8, v20
	v_fma_f16 v7, v75, v27, -v7
	v_and_or_b32 v15, 0x1ff, v16, v15
	v_and_b32_e32 v25, 7, v2
	v_cndmask_b32_e64 v10, 0, 1, vcc_lo
	v_cmp_ne_u32_e32 vcc_lo, 0, v21
	v_lshrrev_b32_e32 v2, 2, v2
	v_lshrrev_b32_e32 v30, 8, v16
	v_cmp_eq_u32_e64 s0, 3, v25
	v_and_or_b32 v10, 0xffe, v12, v10
	v_cndmask_b32_e64 v21, 0, 1, vcc_lo
	v_cmp_gt_i32_e32 vcc_lo, 31, v33
	v_sub_nc_u32_e32 v12, 0x3f1, v19
	v_bfe_u32 v31, v16, 20, 11
	v_or_b32_e32 v29, 0x1000, v10
	v_lshl_or_b32 v21, v21, 9, 0x7c00
	v_cndmask_b32_e32 v8, 0x7c00, v8, vcc_lo
	v_cmp_lt_i32_e32 vcc_lo, 5, v25
	v_med3_i32 v12, v12, 0, 13
	v_cvt_f32_f16_e32 v25, v26
	v_add_nc_u32_e32 v19, 0xfffffc10, v19
	v_cndmask_b32_e64 v8, v8, v21, s1
	s_or_b32 vcc_lo, s0, vcc_lo
	v_lshrrev_b32_e32 v21, v12, v29
	v_add_co_ci_u32_e32 v2, vcc_lo, 0, v2, vcc_lo
	v_cmp_ne_u32_e32 vcc_lo, 0, v15
	v_cvt_f64_f32_e32 v[25:26], v25
	v_lshlrev_b32_e32 v12, v12, v21
	v_cvt_f32_f16_e32 v7, v7
	v_lshrrev_b32_e32 v33, 16, v22
	v_cndmask_b32_e64 v15, 0, 1, vcc_lo
	v_cmp_ne_u32_e32 vcc_lo, 0, v35
	v_lshrrev_b32_e32 v20, 16, v20
	v_lshrrev_b32_e32 v16, 16, v16
	v_and_or_b32 v8, 0x8000, v33, v8
	v_and_or_b32 v15, 0xffe, v30, v15
	v_cndmask_b32_e64 v32, 0, 1, vcc_lo
	v_cmp_gt_i32_e32 vcc_lo, 31, v6
	v_sub_nc_u32_e32 v30, 0x3f1, v31
	v_and_b32_e32 v8, 0xffff, v8
	v_cndmask_b32_e32 v2, 0x7c00, v2, vcc_lo
	v_cmp_ne_u32_e32 vcc_lo, v12, v29
	v_lshl_or_b32 v29, v32, 9, 0x7c00
	v_or_b32_e32 v32, 0x1000, v15
	v_med3_i32 v30, v30, 0, 13
	v_cndmask_b32_e64 v12, 0, 1, vcc_lo
	v_cmp_gt_i32_e32 vcc_lo, 1, v19
	v_lshrrev_b32_e32 v34, v30, v32
	v_or_b32_e32 v12, v21, v12
	v_lshl_or_b32 v21, v19, 12, v10
	v_cndmask_b32_e32 v12, v21, v12, vcc_lo
	v_cmp_eq_u32_e32 vcc_lo, 0x40f, v6
	v_mul_f64 v[21:22], v[25:26], s[2:3]
	v_lshrrev_b32_e32 v6, 16, v28
	v_lshlrev_b32_e32 v28, v30, v34
	v_and_b32_e32 v27, 7, v12
	v_cvt_f64_f32_e32 v[25:26], v7
	v_cndmask_b32_e32 v2, v2, v29, vcc_lo
	v_lshrrev_b32_e32 v12, 2, v12
	v_cmp_ne_u32_e64 s1, v28, v32
	v_cmp_lt_i32_e32 vcc_lo, 5, v27
	v_cmp_eq_u32_e64 s0, 3, v27
	v_and_or_b32 v2, 0x8000, v6, v2
	v_add_nc_u32_e32 v29, 0xfffffc10, v31
	v_cndmask_b32_e64 v27, 0, 1, s1
	ds_read2_b32 v[6:7], v71 offset0:80 offset1:85
	s_or_b32 vcc_lo, s0, vcc_lo
	v_lshl_or_b32 v2, v2, 16, v8
	v_add_co_ci_u32_e32 v12, vcc_lo, 0, v12, vcc_lo
	v_cmp_ne_u32_e32 vcc_lo, 0, v10
	v_or_b32_e32 v27, v34, v27
	v_lshl_or_b32 v28, v29, 12, v15
	v_and_or_b32 v21, 0x1ff, v22, v21
	v_cndmask_b32_e64 v10, 0, 1, vcc_lo
	v_cmp_gt_i32_e32 vcc_lo, 1, v29
	v_bfe_u32 v31, v22, 20, 11
	v_mul_f64 v[25:26], v[25:26], s[2:3]
	v_lshl_or_b32 v10, v10, 9, 0x7c00
	v_cndmask_b32_e32 v27, v28, v27, vcc_lo
	v_cmp_gt_i32_e32 vcc_lo, 31, v19
	v_sub_nc_u32_e32 v32, 0x3f1, v31
	v_add_nc_u32_e32 v31, 0xfffffc10, v31
	s_waitcnt lgkmcnt(0)
	v_lshrrev_b32_e32 v30, 16, v6
	v_and_b32_e32 v28, 7, v27
	v_cndmask_b32_e32 v8, 0x7c00, v12, vcc_lo
	v_cmp_ne_u32_e32 vcc_lo, 0, v21
	v_lshrrev_b32_e32 v21, 8, v22
	v_med3_i32 v32, v32, 0, 13
	v_cmp_eq_u32_e64 s0, 3, v28
	v_cmp_eq_u32_e64 s1, 0x40f, v31
	v_cndmask_b32_e64 v12, 0, 1, vcc_lo
	v_add_co_u32 v23, vcc_lo, v23, s5
	v_add_co_ci_u32_e32 v24, vcc_lo, s4, v24, vcc_lo
	v_and_or_b32 v12, 0xffe, v21, v12
	v_mul_f16_sdwa v21, v74, v30 dst_sel:DWORD dst_unused:UNUSED_PAD src0_sel:WORD_1 src1_sel:DWORD
	v_cmp_eq_u32_e32 vcc_lo, 0x40f, v19
	v_bfe_u32 v34, v26, 20, 11
	v_lshrrev_b32_e32 v22, 16, v22
	v_or_b32_e32 v33, 0x1000, v12
	v_fmac_f16_e32 v21, v74, v6
	v_cndmask_b32_e32 v8, v8, v10, vcc_lo
	v_cmp_lt_i32_e32 vcc_lo, 5, v28
	v_mul_f16_sdwa v6, v74, v6 dst_sel:DWORD dst_unused:UNUSED_PAD src0_sel:WORD_1 src1_sel:DWORD
	v_lshrrev_b32_e32 v19, v32, v33
	v_cvt_f32_f16_e32 v10, v21
	v_and_or_b32 v21, 0x1ff, v26, v25
	v_lshrrev_b32_e32 v25, 2, v27
	s_or_b32 vcc_lo, s0, vcc_lo
	v_fma_f16 v6, v74, v30, -v6
	v_cvt_f64_f32_e32 v[27:28], v10
	v_lshlrev_b32_e32 v10, v32, v19
	v_add_co_ci_u32_e32 v25, vcc_lo, 0, v25, vcc_lo
	v_cmp_ne_u32_e32 vcc_lo, 0, v21
	v_lshrrev_b32_e32 v32, 8, v26
	v_cvt_f32_f16_e32 v6, v6
	v_and_or_b32 v8, 0x8000, v20, v8
	v_lshrrev_b32_e32 v26, 16, v26
	v_cndmask_b32_e64 v21, 0, 1, vcc_lo
	v_cmp_gt_i32_e32 vcc_lo, 31, v29
	global_store_dword v[23:24], v2, off
	v_and_or_b32 v21, 0xffe, v32, v21
	v_cndmask_b32_e32 v25, 0x7c00, v25, vcc_lo
	v_cmp_ne_u32_e32 vcc_lo, 0, v15
	v_sub_nc_u32_e32 v32, 0x3f1, v34
	v_cndmask_b32_e64 v15, 0, 1, vcc_lo
	v_cmp_ne_u32_e32 vcc_lo, v10, v33
	v_or_b32_e32 v33, 0x1000, v21
	v_med3_i32 v32, v32, 0, 13
	v_mul_f64 v[27:28], v[27:28], s[2:3]
	v_lshl_or_b32 v15, v15, 9, 0x7c00
	v_cndmask_b32_e64 v10, 0, 1, vcc_lo
	v_cmp_eq_u32_e32 vcc_lo, 0x40f, v29
	v_lshrrev_b32_e32 v35, v32, v33
	v_add_nc_u32_e32 v29, 0xfffffc10, v34
	v_or_b32_e32 v10, v19, v10
	v_lshl_or_b32 v19, v31, 12, v12
	v_cndmask_b32_e32 v15, v25, v15, vcc_lo
	v_cmp_gt_i32_e32 vcc_lo, 1, v31
	v_and_or_b32 v25, 0x8000, v16, v15
	v_cndmask_b32_e32 v10, v19, v10, vcc_lo
	v_lshlrev_b32_e32 v19, v32, v35
	v_cvt_f64_f32_e32 v[15:16], v6
	v_and_b32_e32 v6, 0xffff, v8
	v_and_b32_e32 v20, 7, v10
	v_cmp_ne_u32_e32 vcc_lo, v19, v33
	v_lshrrev_b32_e32 v10, 2, v10
	v_and_or_b32 v19, 0x1ff, v28, v27
	v_bfe_u32 v27, v28, 20, 11
	v_cmp_eq_u32_e64 s0, 3, v20
	v_cndmask_b32_e64 v8, 0, 1, vcc_lo
	v_cmp_lt_i32_e32 vcc_lo, 5, v20
	v_lshl_or_b32 v20, v29, 12, v21
	v_lshl_or_b32 v6, v25, 16, v6
	v_or_b32_e32 v8, v35, v8
	s_or_b32 vcc_lo, s0, vcc_lo
	v_add_co_ci_u32_e32 v10, vcc_lo, 0, v10, vcc_lo
	v_cmp_gt_i32_e32 vcc_lo, 1, v29
	v_mul_f64 v[15:16], v[15:16], s[2:3]
	v_cndmask_b32_e32 v8, v20, v8, vcc_lo
	v_cmp_ne_u32_e32 vcc_lo, 0, v19
	v_lshrrev_b32_e32 v20, 8, v28
	v_lshrrev_b32_e32 v28, 16, v28
	v_and_b32_e32 v30, 7, v8
	v_cndmask_b32_e64 v19, 0, 1, vcc_lo
	v_cmp_ne_u32_e32 vcc_lo, 0, v12
	v_lshrrev_b32_e32 v8, 2, v8
	v_cmp_eq_u32_e64 s0, 3, v30
	v_and_or_b32 v32, 0xffe, v20, v19
	v_cndmask_b32_e64 v12, 0, 1, vcc_lo
	v_cmp_gt_i32_e32 vcc_lo, 31, v31
	v_sub_nc_u32_e32 v19, 0x3f1, v27
	v_add_nc_u32_e32 v27, 0xfffffc10, v27
	v_or_b32_e32 v20, 0x1000, v32
	v_lshl_or_b32 v12, v12, 9, 0x7c00
	v_cndmask_b32_e32 v10, 0x7c00, v10, vcc_lo
	v_cmp_lt_i32_e32 vcc_lo, 5, v30
	v_med3_i32 v19, v19, 0, 13
	v_lshrrev_b32_e32 v30, 16, v9
	v_and_or_b32 v15, 0x1ff, v16, v15
	v_cndmask_b32_e64 v10, v10, v12, s1
	s_or_b32 vcc_lo, s0, vcc_lo
	v_lshrrev_b32_e32 v12, v19, v20
	v_add_co_ci_u32_e32 v8, vcc_lo, 0, v8, vcc_lo
	v_cmp_ne_u32_e32 vcc_lo, 0, v21
	v_mul_f16_sdwa v31, v73, v30 dst_sel:DWORD dst_unused:UNUSED_PAD src0_sel:WORD_1 src1_sel:DWORD
	v_lshlrev_b32_e32 v19, v19, v12
	v_lshrrev_b32_e32 v25, 8, v16
	v_bfe_u32 v33, v16, 20, 11
	v_cndmask_b32_e64 v21, 0, 1, vcc_lo
	v_cmp_gt_i32_e32 vcc_lo, 31, v29
	v_fmac_f16_e32 v31, v73, v9
	v_mul_f16_sdwa v9, v73, v9 dst_sel:DWORD dst_unused:UNUSED_PAD src0_sel:WORD_1 src1_sel:DWORD
	v_and_or_b32 v10, 0x8000, v22, v10
	v_lshl_or_b32 v21, v21, 9, 0x7c00
	v_cndmask_b32_e32 v8, 0x7c00, v8, vcc_lo
	v_cmp_ne_u32_e32 vcc_lo, 0, v15
	v_fma_f16 v9, v73, v30, -v9
	v_lshrrev_b32_e32 v35, 16, v16
	v_cndmask_b32_e64 v15, 0, 1, vcc_lo
	v_cmp_ne_u32_e32 vcc_lo, v19, v20
	v_cvt_f32_f16_e32 v20, v31
	v_lshl_or_b32 v31, v27, 12, v32
	v_cvt_f32_f16_e32 v30, v9
	v_and_or_b32 v15, 0xffe, v25, v15
	v_cndmask_b32_e64 v19, 0, 1, vcc_lo
	v_sub_nc_u32_e32 v25, 0x3f1, v33
	v_cmp_eq_u32_e32 vcc_lo, 0x40f, v29
	v_or_b32_e32 v34, 0x1000, v15
	v_or_b32_e32 v12, v12, v19
	v_cvt_f64_f32_e32 v[19:20], v20
	v_med3_i32 v25, v25, 0, 13
	v_cndmask_b32_e32 v8, v8, v21, vcc_lo
	v_cmp_gt_i32_e32 vcc_lo, 1, v27
	v_lshrrev_b32_e32 v29, v25, v34
	v_and_or_b32 v8, 0x8000, v26, v8
	v_cndmask_b32_e32 v12, v31, v12, vcc_lo
	v_and_b32_e32 v26, 0xffff, v10
	v_add_co_u32 v21, vcc_lo, v23, s5
	v_lshlrev_b32_e32 v25, v25, v29
	v_and_b32_e32 v31, 7, v12
	v_add_co_ci_u32_e32 v22, vcc_lo, s4, v24, vcc_lo
	v_lshrrev_b32_e32 v2, 2, v12
	v_cmp_ne_u32_e64 s1, v25, v34
	v_cmp_lt_i32_e32 vcc_lo, 5, v31
	v_cmp_eq_u32_e64 s0, 3, v31
	v_add_nc_u32_e32 v31, 0xfffffc10, v33
	global_store_dword v[21:22], v6, off
	v_mul_f64 v[9:10], v[19:20], s[2:3]
	v_cvt_f64_f32_e32 v[19:20], v30
	v_cndmask_b32_e64 v25, 0, 1, s1
	s_or_b32 vcc_lo, s0, vcc_lo
	v_lshl_or_b32 v23, v31, 12, v15
	v_add_co_ci_u32_e32 v2, vcc_lo, 0, v2, vcc_lo
	v_or_b32_e32 v12, v29, v25
	v_cmp_gt_i32_e32 vcc_lo, 1, v31
	v_lshl_or_b32 v6, v8, 16, v26
	v_add_co_u32 v21, s1, v21, s5
	v_add_co_ci_u32_e64 v22, s1, s4, v22, s1
	v_cndmask_b32_e32 v12, v23, v12, vcc_lo
	v_cmp_ne_u32_e32 vcc_lo, 0, v32
	v_cmp_eq_u32_e64 s1, 0x40f, v27
	global_store_dword v[21:22], v6, off
	v_and_b32_e32 v24, 7, v12
	v_cndmask_b32_e64 v23, 0, 1, vcc_lo
	v_cmp_gt_i32_e32 vcc_lo, 31, v27
	v_and_or_b32 v25, 0x1ff, v10, v9
	ds_read2_b32 v[8:9], v71 offset0:110 offset1:115
	v_mul_f64 v[19:20], v[19:20], s[2:3]
	v_lshl_or_b32 v23, v23, 9, 0x7c00
	v_cndmask_b32_e32 v2, 0x7c00, v2, vcc_lo
	v_cmp_lt_i32_e32 vcc_lo, 5, v24
	v_cmp_eq_u32_e64 s0, 3, v24
	v_lshrrev_b32_e32 v12, 2, v12
	v_lshrrev_b32_e32 v24, 8, v10
	v_cndmask_b32_e64 v2, v2, v23, s1
	v_cmp_ne_u32_e64 s1, 0, v25
	s_or_b32 vcc_lo, s0, vcc_lo
	v_bfe_u32 v27, v10, 20, 11
	v_add_co_ci_u32_e32 v12, vcc_lo, 0, v12, vcc_lo
	v_cndmask_b32_e64 v23, 0, 1, s1
	v_cmp_ne_u32_e32 vcc_lo, 0, v15
	v_and_or_b32 v28, 0x8000, v28, v2
	v_lshrrev_b32_e32 v10, 16, v10
	v_and_or_b32 v30, 0xffe, v24, v23
	s_waitcnt lgkmcnt(0)
	v_lshrrev_b32_e32 v29, 16, v8
	v_cndmask_b32_e64 v15, 0, 1, vcc_lo
	v_sub_nc_u32_e32 v23, 0x3f1, v27
	v_cmp_gt_i32_e32 vcc_lo, 31, v31
	v_or_b32_e32 v32, 0x1000, v30
	v_mul_f16_sdwa v24, v72, v29 dst_sel:DWORD dst_unused:UNUSED_PAD src0_sel:WORD_1 src1_sel:DWORD
	v_lshl_or_b32 v15, v15, 9, 0x7c00
	v_med3_i32 v33, v23, 0, 13
	v_cndmask_b32_e32 v12, 0x7c00, v12, vcc_lo
	v_and_or_b32 v19, 0x1ff, v20, v19
	v_cmp_eq_u32_e32 vcc_lo, 0x40f, v31
	v_fmac_f16_e32 v24, v72, v8
	v_lshrrev_b32_e32 v31, 8, v20
	v_bfe_u32 v34, v20, 20, 11
	v_mul_f16_sdwa v8, v72, v8 dst_sel:DWORD dst_unused:UNUSED_PAD src0_sel:WORD_1 src1_sel:DWORD
	v_cndmask_b32_e32 v12, v12, v15, vcc_lo
	v_lshrrev_b32_e32 v15, v33, v32
	v_cmp_ne_u32_e32 vcc_lo, 0, v19
	v_cvt_f32_f16_e32 v25, v24
	v_mad_u64_u32 v[23:24], null, s8, v69, 0
	v_lshlrev_b32_e32 v33, v33, v15
	v_cndmask_b32_e64 v19, 0, 1, vcc_lo
	v_cvt_f64_f32_e32 v[25:26], v25
	v_sub_nc_u32_e32 v16, 0x3f1, v34
	v_and_or_b32 v12, 0x8000, v35, v12
	v_cmp_ne_u32_e32 vcc_lo, v33, v32
	v_and_or_b32 v19, 0xffe, v31, v19
	v_add_nc_u32_e32 v32, 0xfffffc10, v27
	v_mov_b32_e32 v2, v24
	v_med3_i32 v24, v16, 0, 13
	v_cndmask_b32_e64 v31, 0, 1, vcc_lo
	v_or_b32_e32 v33, 0x1000, v19
	v_cmp_gt_i32_e32 vcc_lo, 1, v32
	v_lshrrev_b32_e32 v20, 16, v20
	v_or_b32_e32 v27, v15, v31
	v_lshl_or_b32 v31, v32, 12, v30
	v_mad_u64_u32 v[15:16], null, s9, v69, v[2:3]
	v_fma_f16 v2, v72, v29, -v8
	v_lshrrev_b32_e32 v29, v24, v33
	v_cndmask_b32_e32 v8, v31, v27, vcc_lo
	v_and_b32_e32 v16, 0xffff, v28
	v_cvt_f32_f16_e32 v2, v2
	v_lshlrev_b32_e32 v35, v24, v29
	v_and_b32_e32 v31, 7, v8
	v_mul_f64 v[25:26], v[25:26], s[2:3]
	v_lshrrev_b32_e32 v8, 2, v8
	v_cvt_f64_f32_e32 v[27:28], v2
	v_cmp_ne_u32_e64 s0, v35, v33
	v_lshl_or_b32 v2, v12, 16, v16
	v_cmp_lt_i32_e32 vcc_lo, 5, v31
	v_mov_b32_e32 v24, v15
	v_add_nc_u32_e32 v33, 0xfffffc10, v34
	v_cndmask_b32_e64 v12, 0, 1, s0
	v_cmp_eq_u32_e64 s0, 3, v31
	v_lshrrev_b32_e32 v31, 16, v11
	v_lshlrev_b64 v[15:16], 2, v[23:24]
	v_lshl_or_b32 v23, v33, 12, v19
	v_or_b32_e32 v12, v29, v12
	s_or_b32 vcc_lo, s0, vcc_lo
	v_add_co_ci_u32_e32 v8, vcc_lo, 0, v8, vcc_lo
	v_cmp_ne_u32_e32 vcc_lo, 0, v30
	v_and_or_b32 v25, 0x1ff, v26, v25
	v_cndmask_b32_e64 v29, 0, 1, vcc_lo
	v_cmp_gt_i32_e32 vcc_lo, 1, v33
	v_bfe_u32 v30, v26, 20, 11
	v_cndmask_b32_e32 v12, v23, v12, vcc_lo
	v_cmp_gt_i32_e32 vcc_lo, 31, v32
	v_mul_f64 v[23:24], v[27:28], s[2:3]
	v_lshl_or_b32 v27, v29, 9, 0x7c00
	v_lshrrev_b32_e32 v29, 8, v26
	v_and_b32_e32 v28, 7, v12
	v_cndmask_b32_e32 v8, 0x7c00, v8, vcc_lo
	v_cmp_ne_u32_e32 vcc_lo, 0, v25
	v_lshrrev_b32_e32 v12, 2, v12
	v_lshrrev_b32_e32 v26, 16, v26
	v_cmp_eq_u32_e64 s0, 3, v28
	v_cndmask_b32_e64 v25, 0, 1, vcc_lo
	v_add_co_u32 v15, vcc_lo, v17, v15
	v_add_co_ci_u32_e32 v16, vcc_lo, v18, v16, vcc_lo
	v_cmp_eq_u32_e32 vcc_lo, 0x40f, v32
	v_and_or_b32 v25, 0xffe, v29, v25
	global_store_dword v[15:16], v2, off
	v_cndmask_b32_e32 v8, v8, v27, vcc_lo
	v_cmp_lt_i32_e32 vcc_lo, 5, v28
	v_sub_nc_u32_e32 v27, 0x3f1, v30
	v_or_b32_e32 v29, 0x1000, v25
	v_mul_f16_sdwa v28, v70, v31 dst_sel:DWORD dst_unused:UNUSED_PAD src0_sel:WORD_1 src1_sel:DWORD
	v_and_or_b32 v23, 0x1ff, v24, v23
	s_or_b32 vcc_lo, s0, vcc_lo
	v_med3_i32 v27, v27, 0, 13
	v_add_co_ci_u32_e32 v12, vcc_lo, 0, v12, vcc_lo
	v_cmp_ne_u32_e32 vcc_lo, 0, v19
	v_fmac_f16_e32 v28, v70, v11
	v_lshrrev_b32_e32 v32, v27, v29
	v_lshrrev_b32_e32 v34, 8, v24
	v_bfe_u32 v35, v24, 20, 11
	v_cndmask_b32_e64 v19, 0, 1, vcc_lo
	v_cmp_gt_i32_e32 vcc_lo, 31, v33
	v_cvt_f32_f16_e32 v28, v28
	v_lshlrev_b32_e32 v36, v27, v32
	v_add_nc_u32_e32 v30, 0xfffffc10, v30
	v_lshl_or_b32 v19, v19, 9, 0x7c00
	v_cndmask_b32_e32 v12, 0x7c00, v12, vcc_lo
	v_cmp_ne_u32_e32 vcc_lo, 0, v23
	v_cvt_f64_f32_e32 v[27:28], v28
	v_mul_f16_sdwa v11, v70, v11 dst_sel:DWORD dst_unused:UNUSED_PAD src0_sel:WORD_1 src1_sel:DWORD
	v_and_or_b32 v8, 0x8000, v10, v8
	v_cndmask_b32_e64 v23, 0, 1, vcc_lo
	v_cmp_ne_u32_e32 vcc_lo, v36, v29
	v_fma_f16 v11, v70, v31, -v11
	v_lshl_or_b32 v31, v30, 12, v25
	v_and_b32_e32 v8, 0xffff, v8
	v_and_or_b32 v23, 0xffe, v34, v23
	v_sub_nc_u32_e32 v34, 0x3f1, v35
	v_cndmask_b32_e64 v29, 0, 1, vcc_lo
	v_cmp_eq_u32_e32 vcc_lo, 0x40f, v33
	v_cvt_f32_f16_e32 v11, v11
	v_or_b32_e32 v36, 0x1000, v23
	v_med3_i32 v34, v34, 0, 13
	v_cndmask_b32_e32 v12, v12, v19, vcc_lo
	v_or_b32_e32 v19, v32, v29
	v_cmp_gt_i32_e32 vcc_lo, 1, v30
	v_lshrrev_b32_e32 v29, v34, v36
	v_and_or_b32 v12, 0x8000, v20, v12
	v_cndmask_b32_e32 v31, v31, v19, vcc_lo
	v_lshlrev_b32_e32 v10, v34, v29
	v_mul_f64 v[19:20], v[27:28], s[2:3]
	v_cvt_f64_f32_e32 v[27:28], v11
	v_lshl_or_b32 v2, v12, 16, v8
	v_and_b32_e32 v6, 7, v31
	v_cmp_ne_u32_e32 vcc_lo, v10, v36
	v_add_nc_u32_e32 v12, 0xfffffc10, v35
	ds_read2_b32 v[10:11], v71 offset0:140 offset1:145
	v_cmp_eq_u32_e64 s0, 3, v6
	v_cndmask_b32_e64 v8, 0, 1, vcc_lo
	v_cmp_lt_i32_e32 vcc_lo, 5, v6
	v_lshrrev_b32_e32 v6, 2, v31
	v_lshl_or_b32 v15, v12, 12, v23
	v_or_b32_e32 v8, v29, v8
	s_or_b32 vcc_lo, s0, vcc_lo
	v_add_co_ci_u32_e32 v6, vcc_lo, 0, v6, vcc_lo
	v_cmp_ne_u32_e32 vcc_lo, 0, v25
	v_and_or_b32 v19, 0x1ff, v20, v19
	v_bfe_u32 v31, v20, 20, 11
	v_cndmask_b32_e64 v25, 0, 1, vcc_lo
	v_cmp_gt_i32_e32 vcc_lo, 1, v12
	s_waitcnt lgkmcnt(0)
	v_lshrrev_b32_e32 v29, 16, v10
	v_lshl_or_b32 v25, v25, 9, 0x7c00
	v_cndmask_b32_e32 v8, v15, v8, vcc_lo
	v_add_co_u32 v21, vcc_lo, v21, s7
	v_mul_f64 v[15:16], v[27:28], s[2:3]
	v_add_co_ci_u32_e32 v22, vcc_lo, s6, v22, vcc_lo
	v_cmp_gt_i32_e32 vcc_lo, 31, v30
	v_lshrrev_b32_e32 v27, 8, v20
	v_and_b32_e32 v32, 7, v8
	global_store_dword v[21:22], v2, off
	v_mul_f16_sdwa v28, v68, v29 dst_sel:DWORD dst_unused:UNUSED_PAD src0_sel:WORD_1 src1_sel:DWORD
	v_cndmask_b32_e32 v6, 0x7c00, v6, vcc_lo
	v_cmp_ne_u32_e32 vcc_lo, 0, v19
	v_cmp_eq_u32_e64 s0, 3, v32
	v_lshrrev_b32_e32 v8, 2, v8
	v_fmac_f16_e32 v28, v68, v10
	v_mul_f16_sdwa v10, v68, v10 dst_sel:DWORD dst_unused:UNUSED_PAD src0_sel:WORD_1 src1_sel:DWORD
	v_cndmask_b32_e64 v19, 0, 1, vcc_lo
	v_cmp_eq_u32_e32 vcc_lo, 0x40f, v30
	v_lshrrev_b32_e32 v20, 16, v20
	v_fma_f16 v10, v68, v29, -v10
	v_and_or_b32 v2, 0xffe, v27, v19
	v_sub_nc_u32_e32 v19, 0x3f1, v31
	v_cndmask_b32_e32 v6, v6, v25, vcc_lo
	v_cmp_lt_i32_e32 vcc_lo, 5, v32
	v_and_or_b32 v15, 0x1ff, v16, v15
	v_or_b32_e32 v25, 0x1000, v2
	v_med3_i32 v19, v19, 0, 13
	v_cvt_f32_f16_e32 v27, v28
	s_or_b32 vcc_lo, s0, vcc_lo
	v_lshrrev_b32_e32 v32, 8, v16
	v_add_co_ci_u32_e32 v8, vcc_lo, 0, v8, vcc_lo
	v_lshrrev_b32_e32 v30, v19, v25
	v_cmp_ne_u32_e32 vcc_lo, 0, v15
	v_bfe_u32 v33, v16, 20, 11
	v_cvt_f64_f32_e32 v[27:28], v27
	v_cvt_f32_f16_e32 v10, v10
	v_lshlrev_b32_e32 v19, v19, v30
	v_cndmask_b32_e64 v15, 0, 1, vcc_lo
	v_cmp_gt_i32_e32 vcc_lo, 31, v12
	v_and_or_b32 v6, 0x8000, v26, v6
	v_and_or_b32 v15, 0xffe, v32, v15
	v_cndmask_b32_e32 v8, 0x7c00, v8, vcc_lo
	v_sub_nc_u32_e32 v32, 0x3f1, v33
	v_cmp_ne_u32_e32 vcc_lo, v19, v25
	v_add_nc_u32_e32 v25, 0xfffffc10, v31
	v_or_b32_e32 v31, 0x1000, v15
	v_and_b32_e32 v6, 0xffff, v6
	v_med3_i32 v32, v32, 0, 13
	v_cndmask_b32_e64 v19, 0, 1, vcc_lo
	v_cmp_ne_u32_e32 vcc_lo, 0, v23
	v_cmp_eq_u32_e64 s1, 0x40f, v25
	v_lshrrev_b32_e32 v34, v32, v31
	v_or_b32_e32 v19, v30, v19
	v_cndmask_b32_e64 v23, 0, 1, vcc_lo
	v_lshl_or_b32 v30, v25, 12, v2
	v_cmp_gt_i32_e32 vcc_lo, 1, v25
	v_mul_f64 v[27:28], v[27:28], s[2:3]
	v_lshl_or_b32 v23, v23, 9, 0x7c00
	v_cndmask_b32_e32 v19, v30, v19, vcc_lo
	v_lshlrev_b32_e32 v30, v32, v34
	v_cmp_eq_u32_e32 vcc_lo, 0x40f, v12
	v_lshrrev_b32_e32 v12, 16, v24
	v_and_b32_e32 v29, 7, v19
	v_cmp_ne_u32_e64 s0, v30, v31
	v_cndmask_b32_e32 v8, v8, v23, vcc_lo
	v_cvt_f64_f32_e32 v[23:24], v10
	v_lshrrev_b32_e32 v10, 2, v19
	v_cmp_lt_i32_e32 vcc_lo, 5, v29
	v_cndmask_b32_e64 v26, 0, 1, s0
	v_cmp_eq_u32_e64 s0, 3, v29
	v_add_nc_u32_e32 v30, 0xfffffc10, v33
	v_and_or_b32 v8, 0x8000, v12, v8
	v_or_b32_e32 v12, v34, v26
	s_or_b32 vcc_lo, s0, vcc_lo
	v_lshl_or_b32 v19, v30, 12, v15
	v_add_co_ci_u32_e32 v10, vcc_lo, 0, v10, vcc_lo
	v_cmp_gt_i32_e32 vcc_lo, 1, v30
	v_and_or_b32 v26, 0x1ff, v28, v27
	v_lshrrev_b32_e32 v27, 8, v28
	v_bfe_u32 v29, v28, 20, 11
	v_cndmask_b32_e32 v12, v19, v12, vcc_lo
	v_cmp_gt_i32_e32 vcc_lo, 31, v25
	v_lshrrev_b32_e32 v25, 16, v0
	v_mul_f64 v[23:24], v[23:24], s[2:3]
	v_and_b32_e32 v19, 7, v12
	v_cndmask_b32_e32 v10, 0x7c00, v10, vcc_lo
	v_cmp_ne_u32_e32 vcc_lo, 0, v2
	v_mul_f16_sdwa v31, v67, v25 dst_sel:DWORD dst_unused:UNUSED_PAD src0_sel:WORD_1 src1_sel:DWORD
	v_cmp_eq_u32_e64 s0, 3, v19
	v_cndmask_b32_e64 v2, 0, 1, vcc_lo
	v_cmp_ne_u32_e32 vcc_lo, 0, v26
	v_fmac_f16_e32 v31, v67, v0
	v_mul_f16_sdwa v0, v67, v0 dst_sel:DWORD dst_unused:UNUSED_PAD src0_sel:WORD_1 src1_sel:DWORD
	v_lshl_or_b32 v2, v2, 9, 0x7c00
	v_cndmask_b32_e64 v26, 0, 1, vcc_lo
	v_cmp_lt_i32_e32 vcc_lo, 5, v19
	v_fma_f16 v0, v67, v25, -v0
	v_cndmask_b32_e64 v2, v10, v2, s1
	v_and_or_b32 v26, 0xffe, v27, v26
	v_sub_nc_u32_e32 v27, 0x3f1, v29
	v_lshrrev_b32_e32 v10, 2, v12
	s_or_b32 vcc_lo, s0, vcc_lo
	v_and_or_b32 v23, 0x1ff, v24, v23
	v_or_b32_e32 v12, 0x1000, v26
	v_med3_i32 v19, v27, 0, 13
	v_add_co_ci_u32_e32 v10, vcc_lo, 0, v10, vcc_lo
	v_cmp_ne_u32_e32 vcc_lo, 0, v15
	v_add_nc_u32_e32 v29, 0xfffffc10, v29
	v_lshrrev_b32_e32 v27, v19, v12
	v_and_or_b32 v2, 0x8000, v20, v2
	v_bfe_u32 v32, v24, 20, 11
	v_cndmask_b32_e64 v15, 0, 1, vcc_lo
	v_cmp_gt_i32_e32 vcc_lo, 31, v30
	v_lshlrev_b32_e32 v19, v19, v27
	v_lshl_or_b32 v25, v29, 12, v26
	v_cvt_f32_f16_e32 v0, v0
	v_lshl_or_b32 v15, v15, 9, 0x7c00
	v_cndmask_b32_e32 v10, 0x7c00, v10, vcc_lo
	v_cmp_ne_u32_e32 vcc_lo, v19, v12
	v_cvt_f32_f16_e32 v19, v31
	v_lshrrev_b32_e32 v31, 8, v24
	v_and_b32_e32 v2, 0xffff, v2
	v_cndmask_b32_e64 v12, 0, 1, vcc_lo
	v_cmp_ne_u32_e32 vcc_lo, 0, v23
	v_cvt_f64_f32_e32 v[19:20], v19
	v_or_b32_e32 v12, v27, v12
	v_cndmask_b32_e64 v23, 0, 1, vcc_lo
	v_cmp_eq_u32_e32 vcc_lo, 0x40f, v30
	v_lshrrev_b32_e32 v30, 16, v16
	v_and_or_b32 v23, 0xffe, v31, v23
	v_cndmask_b32_e32 v10, v10, v15, vcc_lo
	v_cmp_gt_i32_e32 vcc_lo, 1, v29
	v_sub_nc_u32_e32 v31, 0x3f1, v32
	v_cvt_f64_f32_e32 v[15:16], v0
	v_or_b32_e32 v27, 0x1000, v23
	v_lshl_or_b32 v0, v8, 16, v6
	v_cndmask_b32_e32 v12, v25, v12, vcc_lo
	v_med3_i32 v31, v31, 0, 13
	v_and_or_b32 v6, 0x8000, v30, v10
	v_add_co_u32 v21, vcc_lo, v21, s5
	v_and_b32_e32 v10, 7, v12
	v_lshrrev_b32_e32 v25, v31, v27
	v_add_co_ci_u32_e32 v22, vcc_lo, s4, v22, vcc_lo
	v_mul_f64 v[19:20], v[19:20], s[2:3]
	v_cmp_lt_i32_e32 vcc_lo, 5, v10
	v_cmp_eq_u32_e64 s0, 3, v10
	v_lshrrev_b32_e32 v10, 2, v12
	v_lshlrev_b32_e32 v8, v31, v25
	v_add_nc_u32_e32 v12, 0xfffffc10, v32
	v_lshl_or_b32 v6, v6, 16, v2
	s_or_b32 vcc_lo, s0, vcc_lo
	global_store_dword v[21:22], v0, off
	v_add_co_ci_u32_e32 v10, vcc_lo, 0, v10, vcc_lo
	v_cmp_ne_u32_e64 s1, v8, v27
	v_cmp_ne_u32_e32 vcc_lo, 0, v26
	v_mul_f64 v[15:16], v[15:16], s[2:3]
	v_cndmask_b32_e64 v8, 0, 1, s1
	v_cndmask_b32_e64 v26, 0, 1, vcc_lo
	v_cmp_gt_i32_e32 vcc_lo, 31, v29
	v_or_b32_e32 v8, v25, v8
	v_lshl_or_b32 v25, v12, 12, v23
	v_cndmask_b32_e32 v2, 0x7c00, v10, vcc_lo
	v_cmp_gt_i32_e32 vcc_lo, 1, v12
	v_lshl_or_b32 v10, v26, 9, 0x7c00
	v_and_or_b32 v19, 0x1ff, v20, v19
	v_cndmask_b32_e32 v8, v25, v8, vcc_lo
	v_add_co_u32 v25, vcc_lo, v21, s5
	v_add_co_ci_u32_e32 v26, vcc_lo, s4, v22, vcc_lo
	v_cmp_eq_u32_e32 vcc_lo, 0x40f, v29
	v_bfe_u32 v29, v20, 20, 11
	v_and_or_b32 v15, 0x1ff, v16, v15
	v_and_b32_e32 v27, 7, v8
	v_lshrrev_b32_e32 v21, 8, v16
	v_cndmask_b32_e32 v2, v2, v10, vcc_lo
	v_cmp_ne_u32_e32 vcc_lo, 0, v19
	v_lshrrev_b32_e32 v10, 16, v28
	v_lshrrev_b32_e32 v28, 8, v20
	v_cmp_ne_u32_e64 s1, 0, v15
	v_cmp_eq_u32_e64 s0, 3, v27
	v_cndmask_b32_e64 v19, 0, 1, vcc_lo
	v_cmp_lt_i32_e32 vcc_lo, 5, v27
	v_bfe_u32 v27, v16, 20, 11
	v_cndmask_b32_e64 v15, 0, 1, s1
	v_lshrrev_b32_e32 v8, 2, v8
	v_and_or_b32 v0, 0xffe, v28, v19
	v_sub_nc_u32_e32 v19, 0x3f1, v29
	v_lshrrev_b32_e32 v28, 16, v14
	v_and_or_b32 v30, 0xffe, v21, v15
	v_sub_nc_u32_e32 v15, 0x3f1, v27
	v_or_b32_e32 v22, 0x1000, v0
	v_med3_i32 v19, v19, 0, 13
	s_or_b32 vcc_lo, s0, vcc_lo
	v_or_b32_e32 v32, 0x1000, v30
	v_add_co_ci_u32_e32 v8, vcc_lo, 0, v8, vcc_lo
	v_lshrrev_b32_e32 v31, v19, v22
	v_med3_i32 v15, v15, 0, 13
	v_cmp_ne_u32_e32 vcc_lo, 0, v23
	v_mul_f16_sdwa v21, v66, v28 dst_sel:DWORD dst_unused:UNUSED_PAD src0_sel:WORD_1 src1_sel:DWORD
	v_add_nc_u32_e32 v29, 0xfffffc10, v29
	v_lshlrev_b32_e32 v19, v19, v31
	v_lshrrev_b32_e32 v33, v15, v32
	v_cndmask_b32_e64 v23, 0, 1, vcc_lo
	v_fmac_f16_e32 v21, v66, v14
	v_mul_f16_sdwa v14, v66, v14 dst_sel:DWORD dst_unused:UNUSED_PAD src0_sel:WORD_1 src1_sel:DWORD
	v_cmp_ne_u32_e32 vcc_lo, v19, v22
	v_lshlrev_b32_e32 v15, v15, v33
	v_add_nc_u32_e32 v27, 0xfffffc10, v27
	v_cvt_f32_f16_e32 v21, v21
	v_fma_f16 v14, v66, v28, -v14
	v_cndmask_b32_e64 v19, 0, 1, vcc_lo
	v_cmp_gt_i32_e32 vcc_lo, 31, v12
	v_and_or_b32 v2, 0x8000, v10, v2
	v_cvt_f64_f32_e32 v[21:22], v21
	v_cvt_f32_f16_e32 v14, v14
	v_or_b32_e32 v19, v31, v19
	v_cndmask_b32_e32 v8, 0x7c00, v8, vcc_lo
	v_cmp_ne_u32_e32 vcc_lo, v15, v32
	v_lshl_or_b32 v31, v29, 12, v0
	v_cmp_eq_u32_e64 s1, 0x40f, v12
	v_lshl_or_b32 v23, v23, 9, 0x7c00
	v_lshrrev_b32_e32 v16, 16, v16
	v_cndmask_b32_e64 v15, 0, 1, vcc_lo
	v_cmp_gt_i32_e32 vcc_lo, 1, v29
	global_store_dword v[25:26], v6, off
	v_cndmask_b32_e64 v8, v8, v23, s1
	v_cmp_gt_i32_e64 s1, 31, v29
	v_or_b32_e32 v28, v33, v15
	v_cndmask_b32_e32 v19, v31, v19, vcc_lo
	v_lshl_or_b32 v31, v27, 12, v30
	v_cmp_gt_i32_e32 vcc_lo, 1, v27
	v_cvt_f64_f32_e32 v[14:15], v14
	v_and_b32_e32 v32, 7, v19
	v_lshrrev_b32_e32 v12, 2, v19
	v_cndmask_b32_e32 v10, v31, v28, vcc_lo
	v_mul_f64 v[21:22], v[21:22], s[2:3]
	v_lshrrev_b32_e32 v19, 16, v24
	v_cmp_lt_i32_e32 vcc_lo, 5, v32
	v_cmp_eq_u32_e64 s0, 3, v32
	v_and_b32_e32 v23, 7, v10
	v_lshrrev_b32_e32 v10, 2, v10
	v_and_or_b32 v8, 0x8000, v19, v8
	v_and_b32_e32 v31, 0xffff, v2
	s_or_b32 vcc_lo, s0, vcc_lo
	v_cmp_eq_u32_e64 s0, 3, v23
	v_add_co_ci_u32_e32 v12, vcc_lo, 0, v12, vcc_lo
	v_cmp_ne_u32_e32 vcc_lo, 0, v0
	v_lshl_or_b32 v6, v8, 16, v31
	v_cndmask_b32_e64 v12, 0x7c00, v12, s1
	v_cndmask_b32_e64 v0, 0, 1, vcc_lo
	v_cmp_lt_i32_e32 vcc_lo, 5, v23
	v_mul_f64 v[14:15], v[14:15], s[2:3]
	v_lshrrev_b32_e32 v23, 16, v3
	v_lshl_or_b32 v0, v0, 9, 0x7c00
	s_or_b32 vcc_lo, s0, vcc_lo
	v_and_or_b32 v19, 0x1ff, v22, v21
	v_add_co_ci_u32_e32 v10, vcc_lo, 0, v10, vcc_lo
	v_cmp_ne_u32_e32 vcc_lo, 0, v30
	v_mul_f16_sdwa v24, v65, v23 dst_sel:DWORD dst_unused:UNUSED_PAD src0_sel:WORD_1 src1_sel:DWORD
	v_bfe_u32 v28, v22, 20, 11
	v_cndmask_b32_e64 v21, 0, 1, vcc_lo
	v_cmp_eq_u32_e32 vcc_lo, 0x40f, v29
	v_fmac_f16_e32 v24, v65, v3
	v_lshrrev_b32_e32 v29, 16, v20
	v_mul_f16_sdwa v3, v65, v3 dst_sel:DWORD dst_unused:UNUSED_PAD src0_sel:WORD_1 src1_sel:DWORD
	v_add_nc_u32_e32 v33, 0xfffffc10, v28
	v_cndmask_b32_e32 v0, v12, v0, vcc_lo
	v_cmp_gt_i32_e32 vcc_lo, 31, v27
	v_lshl_or_b32 v12, v21, 9, 0x7c00
	v_lshrrev_b32_e32 v21, 8, v22
	v_cvt_f32_f16_e32 v20, v24
	v_and_or_b32 v14, 0x1ff, v15, v14
	v_cndmask_b32_e32 v10, 0x7c00, v10, vcc_lo
	v_cmp_ne_u32_e32 vcc_lo, 0, v19
	v_bfe_u32 v30, v15, 20, 11
	v_fma_f16 v23, v65, v23, -v3
	v_and_or_b32 v0, 0x8000, v29, v0
	v_cmp_eq_u32_e64 s1, 0x40f, v33
	v_cndmask_b32_e64 v19, 0, 1, vcc_lo
	v_cmp_eq_u32_e32 vcc_lo, 0x40f, v27
	v_lshrrev_b32_e32 v27, 8, v15
	v_sub_nc_u32_e32 v2, 0x3f1, v30
	v_cvt_f32_f16_e32 v23, v23
	v_and_b32_e32 v0, 0xffff, v0
	v_cndmask_b32_e32 v10, v10, v12, vcc_lo
	v_and_or_b32 v12, 0xffe, v21, v19
	v_sub_nc_u32_e32 v21, 0x3f1, v28
	v_cvt_f64_f32_e32 v[19:20], v20
	v_cmp_ne_u32_e32 vcc_lo, 0, v14
	v_and_or_b32 v10, 0x8000, v16, v10
	v_or_b32_e32 v24, 0x1000, v12
	v_med3_i32 v21, v21, 0, 13
	v_med3_i32 v29, v2, 0, 13
	v_cndmask_b32_e64 v14, 0, 1, vcc_lo
	v_lshl_or_b32 v0, v10, 16, v0
	v_lshrrev_b32_e32 v22, 16, v22
	v_lshrrev_b32_e32 v32, v21, v24
	v_and_or_b32 v14, 0xffe, v27, v14
	v_lshlrev_b32_e32 v21, v21, v32
	v_or_b32_e32 v16, 0x1000, v14
	v_cmp_ne_u32_e32 vcc_lo, v21, v24
	v_cvt_f64_f32_e32 v[23:24], v23
	v_lshrrev_b32_e32 v34, v29, v16
	v_mul_f64 v[2:3], v[19:20], s[2:3]
	v_cndmask_b32_e64 v21, 0, 1, vcc_lo
	v_add_co_u32 v19, vcc_lo, v25, s5
	v_add_co_ci_u32_e32 v20, vcc_lo, s4, v26, vcc_lo
	v_or_b32_e32 v21, v32, v21
	v_lshl_or_b32 v32, v33, 12, v12
	v_cmp_gt_i32_e32 vcc_lo, 1, v33
	v_lshlrev_b32_e32 v29, v29, v34
	global_store_dword v[19:20], v6, off
	v_mad_u64_u32 v[27:28], null, 0xfffffdf8, s8, v[19:20]
	v_cndmask_b32_e32 v21, v32, v21, vcc_lo
	v_cmp_ne_u32_e32 vcc_lo, v29, v16
	v_add_nc_u32_e32 v16, 0xfffffc10, v30
	v_and_b32_e32 v8, 7, v21
	v_cndmask_b32_e64 v10, 0, 1, vcc_lo
	v_mul_f64 v[23:24], v[23:24], s[2:3]
	v_and_or_b32 v2, 0x1ff, v3, v2
	v_lshrrev_b32_e32 v25, 8, v3
	v_cmp_lt_i32_e32 vcc_lo, 5, v8
	v_cmp_eq_u32_e64 s0, 3, v8
	v_lshrrev_b32_e32 v8, 2, v21
	v_or_b32_e32 v10, v34, v10
	v_lshl_or_b32 v21, v16, 12, v14
	v_bfe_u32 v26, v3, 20, 11
	s_or_b32 vcc_lo, s0, vcc_lo
	v_add_nc_u32_e32 v28, s10, v28
	v_add_co_ci_u32_e32 v8, vcc_lo, 0, v8, vcc_lo
	v_cmp_ne_u32_e32 vcc_lo, 0, v2
	global_store_dword v[27:28], v0, off
	v_cndmask_b32_e64 v2, 0, 1, vcc_lo
	v_cmp_gt_i32_e32 vcc_lo, 1, v16
	v_and_or_b32 v2, 0xffe, v25, v2
	v_cndmask_b32_e32 v10, v21, v10, vcc_lo
	v_cmp_ne_u32_e32 vcc_lo, 0, v12
	v_sub_nc_u32_e32 v21, 0x3f1, v26
	v_add_nc_u32_e32 v26, 0xfffffc10, v26
	v_or_b32_e32 v29, 0x1000, v2
	v_and_b32_e32 v25, 7, v10
	v_cndmask_b32_e64 v12, 0, 1, vcc_lo
	v_cmp_gt_i32_e32 vcc_lo, 31, v33
	v_med3_i32 v21, v21, 0, 13
	v_lshrrev_b32_e32 v10, 2, v10
	v_cmp_eq_u32_e64 s0, 3, v25
	v_lshl_or_b32 v12, v12, 9, 0x7c00
	v_cndmask_b32_e32 v8, 0x7c00, v8, vcc_lo
	v_cmp_lt_i32_e32 vcc_lo, 5, v25
	v_lshrrev_b32_e32 v6, v21, v29
	v_bfe_u32 v25, v24, 20, 11
	v_cndmask_b32_e64 v8, v8, v12, s1
	v_and_or_b32 v12, 0x1ff, v24, v23
	s_or_b32 vcc_lo, s0, vcc_lo
	v_lshrrev_b32_e32 v23, 16, v13
	v_add_co_ci_u32_e32 v10, vcc_lo, 0, v10, vcc_lo
	v_lshlrev_b32_e32 v19, v21, v6
	v_cmp_ne_u32_e32 vcc_lo, 0, v12
	v_mul_f16_sdwa v20, v64, v23 dst_sel:DWORD dst_unused:UNUSED_PAD src0_sel:WORD_1 src1_sel:DWORD
	v_lshrrev_b32_e32 v21, 8, v24
	v_and_or_b32 v8, 0x8000, v22, v8
	v_cndmask_b32_e64 v12, 0, 1, vcc_lo
	v_cmp_ne_u32_e32 vcc_lo, v19, v29
	v_fmac_f16_e32 v20, v64, v13
	v_lshl_or_b32 v29, v26, 12, v2
	v_mul_f16_sdwa v13, v64, v13 dst_sel:DWORD dst_unused:UNUSED_PAD src0_sel:WORD_1 src1_sel:DWORD
	v_and_or_b32 v21, 0xffe, v21, v12
	v_cndmask_b32_e64 v19, 0, 1, vcc_lo
	v_cmp_ne_u32_e32 vcc_lo, 0, v14
	v_cvt_f32_f16_e32 v20, v20
	v_sub_nc_u32_e32 v12, 0x3f1, v25
	v_or_b32_e32 v30, 0x1000, v21
	v_or_b32_e32 v6, v6, v19
	v_cndmask_b32_e64 v14, 0, 1, vcc_lo
	v_cmp_gt_i32_e32 vcc_lo, 1, v26
	v_cvt_f64_f32_e32 v[19:20], v20
	v_med3_i32 v12, v12, 0, 13
	v_fma_f16 v13, v64, v23, -v13
	v_add_nc_u32_e32 v23, 0xfffffc10, v25
	v_cndmask_b32_e32 v6, v29, v6, vcc_lo
	v_cmp_gt_i32_e32 vcc_lo, 31, v16
	v_lshrrev_b32_e32 v29, v12, v30
	v_cvt_f32_f16_e32 v25, v13
	v_lshl_or_b32 v14, v14, 9, 0x7c00
	v_and_b32_e32 v31, 7, v6
	v_cndmask_b32_e32 v10, 0x7c00, v10, vcc_lo
	v_lshrrev_b32_e32 v6, 2, v6
	v_lshlrev_b32_e32 v12, v12, v29
	v_and_b32_e32 v8, 0xffff, v8
	v_cmp_lt_i32_e32 vcc_lo, 5, v31
	v_cmp_eq_u32_e64 s0, 3, v31
	v_cmp_ne_u32_e64 s1, v12, v30
	s_or_b32 vcc_lo, s0, vcc_lo
	v_add_co_ci_u32_e32 v6, vcc_lo, 0, v6, vcc_lo
	v_cmp_ne_u32_e32 vcc_lo, 0, v2
	v_mul_f64 v[12:13], v[19:20], s[2:3]
	v_cvt_f64_f32_e32 v[19:20], v25
	v_cndmask_b32_e64 v22, 0, 1, s1
	v_lshl_or_b32 v25, v23, 12, v21
	v_cndmask_b32_e64 v2, 0, 1, vcc_lo
	v_cmp_eq_u32_e32 vcc_lo, 0x40f, v16
	v_or_b32_e32 v22, v29, v22
	v_lshl_or_b32 v2, v2, 9, 0x7c00
	v_cndmask_b32_e32 v10, v10, v14, vcc_lo
	v_cmp_gt_i32_e32 vcc_lo, 1, v23
	v_lshrrev_b32_e32 v14, 16, v15
	v_cndmask_b32_e32 v15, v25, v22, vcc_lo
	v_cmp_gt_i32_e32 vcc_lo, 31, v26
	v_lshrrev_b32_e32 v22, 16, v3
	v_and_or_b32 v10, 0x8000, v14, v10
	v_and_b32_e32 v0, 7, v15
	v_cndmask_b32_e32 v6, 0x7c00, v6, vcc_lo
	v_cmp_eq_u32_e32 vcc_lo, 0x40f, v26
	v_and_or_b32 v12, 0x1ff, v13, v12
	v_bfe_u32 v25, v13, 20, 11
	v_cmp_eq_u32_e64 s0, 3, v0
	v_lshrrev_b32_e32 v26, 16, v1
	v_cndmask_b32_e32 v6, v6, v2, vcc_lo
	v_mul_f64 v[2:3], v[19:20], s[2:3]
	v_cmp_ne_u32_e64 s1, 0, v12
	v_cmp_lt_i32_e32 vcc_lo, 5, v0
	v_lshrrev_b32_e32 v12, 8, v13
	v_lshl_or_b32 v8, v10, 16, v8
	v_lshrrev_b32_e32 v10, 2, v15
	v_cndmask_b32_e64 v0, 0, 1, s1
	s_or_b32 vcc_lo, s0, vcc_lo
	v_mul_f16_sdwa v16, v63, v26 dst_sel:DWORD dst_unused:UNUSED_PAD src0_sel:WORD_1 src1_sel:DWORD
	v_mad_u64_u32 v[14:15], null, s8, v62, 0
	v_and_or_b32 v12, 0xffe, v12, v0
	v_sub_nc_u32_e32 v0, 0x3f1, v25
	v_add_co_ci_u32_e32 v10, vcc_lo, 0, v10, vcc_lo
	v_cmp_ne_u32_e32 vcc_lo, 0, v21
	v_or_b32_e32 v29, 0x1000, v12
	v_med3_i32 v0, v0, 0, 13
	v_fmac_f16_e32 v16, v63, v1
	v_add_nc_u32_e32 v25, 0xfffffc10, v25
	v_cndmask_b32_e64 v19, 0, 1, vcc_lo
	v_cmp_gt_i32_e32 vcc_lo, 31, v23
	v_and_or_b32 v2, 0x1ff, v3, v2
	v_lshrrev_b32_e32 v21, v0, v29
	v_cvt_f32_f16_e32 v16, v16
	v_lshl_or_b32 v19, v19, 9, 0x7c00
	v_cndmask_b32_e32 v10, 0x7c00, v10, vcc_lo
	v_cmp_ne_u32_e32 vcc_lo, 0, v2
	v_lshlrev_b32_e32 v30, v0, v21
	v_mov_b32_e32 v0, v15
	v_cvt_f64_f32_e32 v[15:16], v16
	v_lshrrev_b32_e32 v31, 8, v3
	v_cndmask_b32_e64 v2, 0, 1, vcc_lo
	v_bfe_u32 v32, v3, 20, 11
	v_cmp_eq_u32_e32 vcc_lo, 0x40f, v23
	v_lshrrev_b32_e32 v23, 16, v24
	v_and_or_b32 v6, 0x8000, v22, v6
	v_and_or_b32 v2, 0xffe, v31, v2
	v_lshrrev_b32_e32 v13, 16, v13
	v_cndmask_b32_e32 v10, v10, v19, vcc_lo
	v_mad_u64_u32 v[19:20], null, s9, v62, v[0:1]
	v_sub_nc_u32_e32 v0, 0x3f1, v32
	v_cmp_ne_u32_e32 vcc_lo, v30, v29
	v_or_b32_e32 v24, 0x1000, v2
	v_mul_f16_sdwa v1, v63, v1 dst_sel:DWORD dst_unused:UNUSED_PAD src0_sel:WORD_1 src1_sel:DWORD
	v_and_or_b32 v10, 0x8000, v23, v10
	v_med3_i32 v0, v0, 0, 13
	v_cndmask_b32_e64 v20, 0, 1, vcc_lo
	v_cmp_gt_i32_e32 vcc_lo, 1, v25
	v_and_b32_e32 v6, 0xffff, v6
	v_fma_f16 v22, v63, v26, -v1
	v_lshrrev_b32_e32 v29, v0, v24
	v_or_b32_e32 v20, v21, v20
	v_lshl_or_b32 v21, v25, 12, v12
	v_lshl_or_b32 v6, v10, 16, v6
	v_cvt_f32_f16_e32 v10, v22
	v_cndmask_b32_e32 v30, v21, v20, vcc_lo
	v_mul_f64 v[20:21], v[15:16], s[2:3]
	v_lshlrev_b32_e32 v16, v0, v29
	v_mov_b32_e32 v15, v19
	v_add_co_u32 v0, vcc_lo, v27, s5
	v_and_b32_e32 v19, 7, v30
	v_cmp_ne_u32_e64 s0, v16, v24
	v_add_co_ci_u32_e32 v1, vcc_lo, s4, v28, vcc_lo
	v_cvt_f64_f32_e32 v[22:23], v10
	v_cmp_lt_i32_e32 vcc_lo, 5, v19
	v_cndmask_b32_e64 v16, 0, 1, s0
	v_cmp_eq_u32_e64 s0, 3, v19
	v_lshrrev_b32_e32 v10, 2, v30
	v_add_nc_u32_e32 v24, 0xfffffc10, v32
	v_lshlrev_b64 v[14:15], 2, v[14:15]
	v_or_b32_e32 v16, v29, v16
	s_or_b32 vcc_lo, s0, vcc_lo
	global_store_dword v[0:1], v8, off
	v_add_co_ci_u32_e32 v10, vcc_lo, 0, v10, vcc_lo
	v_cmp_ne_u32_e32 vcc_lo, 0, v12
	v_lshl_or_b32 v19, v24, 12, v2
	v_and_or_b32 v20, 0x1ff, v21, v20
	v_lshrrev_b32_e32 v28, 8, v21
	v_bfe_u32 v29, v21, 20, 11
	v_cndmask_b32_e64 v12, 0, 1, vcc_lo
	v_cmp_gt_i32_e32 vcc_lo, 1, v24
	v_lshrrev_b32_e32 v21, 16, v21
	v_lshl_or_b32 v12, v12, 9, 0x7c00
	v_cndmask_b32_e32 v16, v19, v16, vcc_lo
	v_cmp_gt_i32_e32 vcc_lo, 31, v25
	v_and_b32_e32 v26, 7, v16
	v_cndmask_b32_e32 v10, 0x7c00, v10, vcc_lo
	v_cmp_ne_u32_e32 vcc_lo, 0, v20
	v_mul_f64 v[19:20], v[22:23], s[2:3]
	v_lshrrev_b32_e32 v16, 2, v16
	v_cmp_eq_u32_e64 s0, 3, v26
	v_lshrrev_b32_e32 v23, 16, v7
	v_cndmask_b32_e64 v27, 0, 1, vcc_lo
	v_cmp_eq_u32_e32 vcc_lo, 0x40f, v25
	v_and_or_b32 v22, 0xffe, v28, v27
	v_cndmask_b32_e32 v10, v10, v12, vcc_lo
	v_cmp_lt_i32_e32 vcc_lo, 5, v26
	v_sub_nc_u32_e32 v12, 0x3f1, v29
	v_mul_f16_sdwa v26, v61, v23 dst_sel:DWORD dst_unused:UNUSED_PAD src0_sel:WORD_1 src1_sel:DWORD
	v_or_b32_e32 v25, 0x1000, v22
	v_and_or_b32 v10, 0x8000, v13, v10
	s_or_b32 vcc_lo, s0, vcc_lo
	v_med3_i32 v12, v12, 0, 13
	v_add_co_ci_u32_e32 v16, vcc_lo, 0, v16, vcc_lo
	v_cmp_ne_u32_e32 vcc_lo, 0, v2
	v_fmac_f16_e32 v26, v61, v7
	v_and_or_b32 v19, 0x1ff, v20, v19
	v_lshrrev_b32_e32 v27, v12, v25
	v_mul_f16_sdwa v7, v61, v7 dst_sel:DWORD dst_unused:UNUSED_PAD src0_sel:WORD_1 src1_sel:DWORD
	v_cndmask_b32_e64 v2, 0, 1, vcc_lo
	v_cmp_gt_i32_e32 vcc_lo, 31, v24
	v_cvt_f32_f16_e32 v26, v26
	v_lshlrev_b32_e32 v28, v12, v27
	v_fma_f16 v7, v61, v23, -v7
	v_lshl_or_b32 v2, v2, 9, 0x7c00
	v_cndmask_b32_e32 v16, 0x7c00, v16, vcc_lo
	v_cmp_eq_u32_e32 vcc_lo, 0x40f, v24
	v_bfe_u32 v24, v20, 20, 11
	v_cvt_f64_f32_e32 v[12:13], v26
	v_add_nc_u32_e32 v26, 0xfffffc10, v29
	v_and_b32_e32 v10, 0xffff, v10
	v_cndmask_b32_e32 v16, v16, v2, vcc_lo
	v_cmp_ne_u32_e32 vcc_lo, 0, v19
	v_lshrrev_b32_e32 v19, 8, v20
	v_cndmask_b32_e64 v2, 0, 1, vcc_lo
	v_cmp_ne_u32_e32 vcc_lo, v28, v25
	v_lshrrev_b32_e32 v28, 16, v3
	v_and_or_b32 v19, 0xffe, v19, v2
	v_sub_nc_u32_e32 v2, 0x3f1, v24
	v_cndmask_b32_e64 v25, 0, 1, vcc_lo
	v_or_b32_e32 v29, 0x1000, v19
	v_med3_i32 v30, v2, 0, 13
	v_add_co_u32 v2, vcc_lo, v17, v14
	v_add_co_ci_u32_e32 v3, vcc_lo, v18, v15, vcc_lo
	v_or_b32_e32 v25, v27, v25
	v_lshl_or_b32 v27, v26, 12, v22
	v_cmp_gt_i32_e32 vcc_lo, 1, v26
	v_and_or_b32 v14, 0x8000, v28, v16
	v_lshrrev_b32_e32 v16, v30, v29
	v_mul_f64 v[12:13], v[12:13], s[2:3]
	global_store_dword v[2:3], v6, off
	v_cndmask_b32_e32 v15, v27, v25, vcc_lo
	v_cvt_f32_f16_e32 v3, v7
	v_lshlrev_b32_e32 v2, v30, v16
	v_lshl_or_b32 v10, v14, 16, v10
	v_and_b32_e32 v8, 7, v15
	v_lshrrev_b32_e32 v6, 2, v15
	v_cmp_ne_u32_e64 s1, v2, v29
	v_cvt_f64_f32_e32 v[2:3], v3
	v_cmp_lt_i32_e32 vcc_lo, 5, v8
	v_cmp_eq_u32_e64 s0, 3, v8
	v_cndmask_b32_e64 v7, 0, 1, s1
	v_add_nc_u32_e32 v8, 0xfffffc10, v24
	v_cmp_eq_u32_e64 s1, 0x40f, v26
	s_or_b32 vcc_lo, s0, vcc_lo
	v_or_b32_e32 v7, v16, v7
	v_add_co_ci_u32_e32 v6, vcc_lo, 0, v6, vcc_lo
	v_cmp_ne_u32_e32 vcc_lo, 0, v22
	v_lshl_or_b32 v14, v8, 12, v19
	v_and_or_b32 v12, 0x1ff, v13, v12
	v_bfe_u32 v16, v13, 20, 11
	v_cndmask_b32_e64 v15, 0, 1, vcc_lo
	v_add_co_u32 v0, vcc_lo, v0, s7
	v_add_co_ci_u32_e32 v1, vcc_lo, s6, v1, vcc_lo
	v_cmp_gt_i32_e32 vcc_lo, 1, v8
	v_mul_f64 v[2:3], v[2:3], s[2:3]
	v_lshl_or_b32 v15, v15, 9, 0x7c00
	v_sub_nc_u32_e32 v18, 0x3f1, v16
	global_store_dword v[0:1], v10, off
	v_cndmask_b32_e32 v7, v14, v7, vcc_lo
	v_cmp_gt_i32_e32 vcc_lo, 31, v26
	v_lshrrev_b32_e32 v14, 8, v13
	v_med3_i32 v18, v18, 0, 13
	v_and_b32_e32 v17, 7, v7
	v_cndmask_b32_e32 v6, 0x7c00, v6, vcc_lo
	v_cmp_ne_u32_e32 vcc_lo, 0, v12
	v_cmp_eq_u32_e64 s0, 3, v17
	v_cndmask_b32_e64 v15, v6, v15, s1
	v_cndmask_b32_e64 v12, 0, 1, vcc_lo
	v_cmp_lt_i32_e32 vcc_lo, 5, v17
	v_lshrrev_b32_e32 v6, 2, v7
	v_and_or_b32 v15, 0x8000, v21, v15
	v_and_or_b32 v12, 0xffe, v14, v12
	v_lshrrev_b32_e32 v14, 16, v4
	s_or_b32 vcc_lo, s0, vcc_lo
	v_and_or_b32 v2, 0x1ff, v3, v2
	v_add_co_ci_u32_e32 v6, vcc_lo, 0, v6, vcc_lo
	v_or_b32_e32 v17, 0x1000, v12
	v_mul_f16_sdwa v22, v60, v14 dst_sel:DWORD dst_unused:UNUSED_PAD src0_sel:WORD_1 src1_sel:DWORD
	v_cmp_ne_u32_e32 vcc_lo, 0, v19
	v_bfe_u32 v24, v3, 20, 11
	v_and_b32_e32 v15, 0xffff, v15
	v_lshrrev_b32_e32 v23, v18, v17
	v_fmac_f16_e32 v22, v60, v4
	v_cndmask_b32_e64 v19, 0, 1, vcc_lo
	v_cmp_gt_i32_e32 vcc_lo, 31, v8
	v_mul_f16_sdwa v4, v60, v4 dst_sel:DWORD dst_unused:UNUSED_PAD src0_sel:WORD_1 src1_sel:DWORD
	v_lshlrev_b32_e32 v18, v18, v23
	v_cvt_f32_f16_e32 v7, v22
	v_lshl_or_b32 v19, v19, 9, 0x7c00
	v_cndmask_b32_e32 v22, 0x7c00, v6, vcc_lo
	v_fma_f16 v4, v60, v14, -v4
	v_cmp_ne_u32_e32 vcc_lo, v18, v17
	v_cvt_f64_f32_e32 v[6:7], v7
	v_add_nc_u32_e32 v18, 0xfffffc10, v16
	v_lshrrev_b32_e32 v16, 8, v3
	v_cvt_f32_f16_e32 v4, v4
	v_cndmask_b32_e64 v17, 0, 1, vcc_lo
	v_cmp_ne_u32_e32 vcc_lo, 0, v2
	v_lshrrev_b32_e32 v3, 16, v3
	v_or_b32_e32 v17, v23, v17
	v_cndmask_b32_e64 v2, 0, 1, vcc_lo
	v_cmp_eq_u32_e32 vcc_lo, 0x40f, v8
	v_lshl_or_b32 v23, v18, 12, v12
	v_and_or_b32 v2, 0xffe, v16, v2
	v_sub_nc_u32_e32 v16, 0x3f1, v24
	v_cndmask_b32_e32 v8, v22, v19, vcc_lo
	v_cmp_gt_i32_e32 vcc_lo, 1, v18
	v_lshrrev_b32_e32 v19, 16, v20
	v_or_b32_e32 v20, 0x1000, v2
	v_med3_i32 v16, v16, 0, 13
	v_mul_f64 v[6:7], v[6:7], s[2:3]
	v_cndmask_b32_e32 v17, v23, v17, vcc_lo
	v_and_or_b32 v8, 0x8000, v19, v8
	v_lshrrev_b32_e32 v21, v16, v20
	v_and_b32_e32 v19, 7, v17
	v_lshl_or_b32 v8, v8, 16, v15
	v_cvt_f64_f32_e32 v[14:15], v4
	v_lshlrev_b32_e32 v10, v16, v21
	v_lshrrev_b32_e32 v16, 2, v17
	v_cmp_lt_i32_e32 vcc_lo, 5, v19
	v_cmp_eq_u32_e64 s0, 3, v19
	v_add_nc_u32_e32 v19, 0xfffffc10, v24
	v_cmp_ne_u32_e64 s1, v10, v20
	s_or_b32 vcc_lo, s0, vcc_lo
	v_add_co_ci_u32_e32 v4, vcc_lo, 0, v16, vcc_lo
	v_cndmask_b32_e64 v10, 0, 1, s1
	v_cmp_ne_u32_e32 vcc_lo, 0, v12
	v_lshl_or_b32 v16, v19, 12, v2
	v_and_or_b32 v6, 0x1ff, v7, v6
	v_bfe_u32 v20, v7, 20, 11
	v_or_b32_e32 v10, v21, v10
	v_cndmask_b32_e64 v12, 0, 1, vcc_lo
	v_cmp_gt_i32_e32 vcc_lo, 1, v19
	v_lshrrev_b32_e32 v21, 16, v9
	v_mul_f64 v[14:15], v[14:15], s[2:3]
	v_lshl_or_b32 v12, v12, 9, 0x7c00
	v_cndmask_b32_e32 v10, v16, v10, vcc_lo
	v_cmp_ne_u32_e32 vcc_lo, 0, v6
	v_lshrrev_b32_e32 v16, 8, v7
	v_mul_f16_sdwa v22, v59, v21 dst_sel:DWORD dst_unused:UNUSED_PAD src0_sel:WORD_1 src1_sel:DWORD
	v_and_b32_e32 v17, 7, v10
	v_cndmask_b32_e64 v6, 0, 1, vcc_lo
	v_cmp_gt_i32_e32 vcc_lo, 31, v18
	v_lshrrev_b32_e32 v10, 2, v10
	v_fmac_f16_e32 v22, v59, v9
	v_cmp_eq_u32_e64 s0, 3, v17
	v_and_or_b32 v6, 0xffe, v16, v6
	v_cndmask_b32_e32 v4, 0x7c00, v4, vcc_lo
	v_cmp_lt_i32_e32 vcc_lo, 5, v17
	v_sub_nc_u32_e32 v16, 0x3f1, v20
	v_cvt_f32_f16_e32 v17, v22
	v_or_b32_e32 v23, 0x1000, v6
	v_mul_f16_sdwa v9, v59, v9 dst_sel:DWORD dst_unused:UNUSED_PAD src0_sel:WORD_1 src1_sel:DWORD
	s_or_b32 vcc_lo, s0, vcc_lo
	v_med3_i32 v16, v16, 0, 13
	v_add_co_ci_u32_e32 v10, vcc_lo, 0, v10, vcc_lo
	v_add_co_u32 v0, vcc_lo, v0, s5
	v_add_co_ci_u32_e32 v1, vcc_lo, s4, v1, vcc_lo
	v_cmp_ne_u32_e32 vcc_lo, 0, v2
	v_lshrrev_b32_e32 v24, v16, v23
	v_fma_f16 v9, v59, v21, -v9
	global_store_dword v[0:1], v8, off
	v_add_co_u32 v0, s1, v0, s5
	v_cndmask_b32_e64 v2, 0, 1, vcc_lo
	v_cmp_eq_u32_e32 vcc_lo, 0x40f, v18
	v_lshlrev_b32_e32 v22, v16, v24
	v_cvt_f64_f32_e32 v[16:17], v17
	v_add_nc_u32_e32 v18, 0xfffffc10, v20
	v_lshl_or_b32 v2, v2, 9, 0x7c00
	v_cndmask_b32_e32 v4, v4, v12, vcc_lo
	v_cmp_gt_i32_e32 vcc_lo, 31, v19
	v_and_or_b32 v12, 0x1ff, v15, v14
	v_lshrrev_b32_e32 v20, 16, v13
	v_add_co_ci_u32_e64 v1, s1, s4, v1, s1
	v_cndmask_b32_e32 v10, 0x7c00, v10, vcc_lo
	v_cmp_ne_u32_e32 vcc_lo, v22, v23
	v_bfe_u32 v22, v15, 20, 11
	v_and_or_b32 v4, 0x8000, v20, v4
	v_lshrrev_b32_e32 v21, 16, v5
	v_cndmask_b32_e64 v14, 0, 1, vcc_lo
	v_cmp_eq_u32_e32 vcc_lo, 0x40f, v19
	v_lshrrev_b32_e32 v19, 8, v15
	v_and_b32_e32 v4, 0xffff, v4
	v_lshrrev_b32_e32 v15, 16, v15
	v_cndmask_b32_e32 v2, v10, v2, vcc_lo
	v_cmp_ne_u32_e32 vcc_lo, 0, v12
	v_mul_f64 v[12:13], v[16:17], s[2:3]
	v_or_b32_e32 v10, v24, v14
	v_lshl_or_b32 v16, v18, 12, v6
	v_sub_nc_u32_e32 v17, 0x3f1, v22
	v_cndmask_b32_e64 v14, 0, 1, vcc_lo
	v_cmp_gt_i32_e32 vcc_lo, 1, v18
	v_and_or_b32 v2, 0x8000, v3, v2
	v_med3_i32 v3, v17, 0, 13
	v_and_or_b32 v14, 0xffe, v19, v14
	v_cndmask_b32_e32 v10, v16, v10, vcc_lo
	v_lshl_or_b32 v2, v2, 16, v4
	v_or_b32_e32 v16, 0x1000, v14
	v_and_b32_e32 v17, 7, v10
	v_lshrrev_b32_e32 v10, 2, v10
	v_lshrrev_b32_e32 v8, v3, v16
	v_cmp_lt_i32_e32 vcc_lo, 5, v17
	v_cmp_eq_u32_e64 s0, 3, v17
	v_bfe_u32 v19, v13, 20, 11
	v_lshlrev_b32_e32 v17, v3, v8
	v_cvt_f32_f16_e32 v3, v9
	v_and_or_b32 v9, 0x1ff, v13, v12
	v_lshrrev_b32_e32 v12, 8, v13
	s_or_b32 vcc_lo, s0, vcc_lo
	v_cvt_f64_f32_e32 v[3:4], v3
	v_cmp_ne_u32_e64 s1, 0, v9
	v_add_co_ci_u32_e32 v10, vcc_lo, 0, v10, vcc_lo
	v_cndmask_b32_e64 v9, 0, 1, s1
	v_cmp_ne_u32_e64 s1, v17, v16
	v_add_nc_u32_e32 v17, 0xfffffc10, v22
	v_mul_f16_sdwa v22, v58, v21 dst_sel:DWORD dst_unused:UNUSED_PAD src0_sel:WORD_1 src1_sel:DWORD
	v_and_or_b32 v12, 0xffe, v12, v9
	v_cndmask_b32_e64 v16, 0, 1, s1
	v_cmp_gt_i32_e32 vcc_lo, 1, v17
	v_sub_nc_u32_e32 v9, 0x3f1, v19
	v_fmac_f16_e32 v22, v58, v5
	v_or_b32_e32 v20, 0x1000, v12
	v_or_b32_e32 v8, v8, v16
	v_lshl_or_b32 v16, v17, 12, v14
	v_med3_i32 v9, v9, 0, 13
	v_cmp_eq_u32_e64 s1, 0x40f, v18
	v_add_nc_u32_e32 v19, 0xfffffc10, v19
	v_mul_f64 v[3:4], v[3:4], s[2:3]
	v_cndmask_b32_e32 v8, v16, v8, vcc_lo
	v_cmp_ne_u32_e32 vcc_lo, 0, v6
	v_lshrrev_b32_e32 v16, v9, v20
	v_mul_f16_sdwa v5, v58, v5 dst_sel:DWORD dst_unused:UNUSED_PAD src0_sel:WORD_1 src1_sel:DWORD
	v_and_b32_e32 v23, 7, v8
	v_cndmask_b32_e64 v6, 0, 1, vcc_lo
	v_cmp_gt_i32_e32 vcc_lo, 31, v18
	v_lshlrev_b32_e32 v9, v9, v16
	v_lshrrev_b32_e32 v18, 2, v8
	v_cmp_eq_u32_e64 s0, 3, v23
	v_lshl_or_b32 v6, v6, 9, 0x7c00
	v_cndmask_b32_e32 v10, 0x7c00, v10, vcc_lo
	v_cmp_lt_i32_e32 vcc_lo, 5, v23
	v_fma_f16 v5, v58, v21, -v5
	v_cndmask_b32_e64 v10, v10, v6, s1
	v_cvt_f32_f16_e32 v6, v22
	v_cmp_ne_u32_e64 s1, v9, v20
	s_or_b32 vcc_lo, s0, vcc_lo
	v_and_or_b32 v3, 0x1ff, v4, v3
	v_cvt_f32_f16_e32 v5, v5
	v_cvt_f64_f32_e32 v[8:9], v6
	v_add_co_ci_u32_e32 v6, vcc_lo, 0, v18, vcc_lo
	v_cndmask_b32_e64 v20, 0, 1, s1
	v_cmp_ne_u32_e32 vcc_lo, 0, v14
	v_lshl_or_b32 v18, v19, 12, v12
	v_or_b32_e32 v16, v16, v20
	v_lshrrev_b32_e32 v20, 16, v7
	v_cndmask_b32_e64 v7, 0, 1, vcc_lo
	v_cmp_gt_i32_e32 vcc_lo, 1, v19
	v_and_or_b32 v10, 0x8000, v20, v10
	v_lshl_or_b32 v23, v7, 9, 0x7c00
	v_cndmask_b32_e32 v14, v18, v16, vcc_lo
	v_cmp_ne_u32_e32 vcc_lo, 0, v3
	v_lshrrev_b32_e32 v16, 8, v4
	v_bfe_u32 v18, v4, 20, 11
	v_and_b32_e32 v10, 0xffff, v10
	v_and_b32_e32 v24, 7, v14
	v_cndmask_b32_e64 v3, 0, 1, vcc_lo
	v_cmp_gt_i32_e32 vcc_lo, 31, v17
	v_lshrrev_b32_e32 v14, 2, v14
	v_cmp_eq_u32_e64 s0, 3, v24
	v_and_or_b32 v3, 0xffe, v16, v3
	v_sub_nc_u32_e32 v16, 0x3f1, v18
	v_cndmask_b32_e32 v22, 0x7c00, v6, vcc_lo
	v_cmp_eq_u32_e32 vcc_lo, 0x40f, v17
	v_mul_f64 v[6:7], v[8:9], s[2:3]
	v_or_b32_e32 v9, 0x1000, v3
	v_med3_i32 v16, v16, 0, 13
	v_cndmask_b32_e32 v8, v22, v23, vcc_lo
	v_cmp_lt_i32_e32 vcc_lo, 5, v24
	v_lshrrev_b32_e32 v17, v16, v9
	v_and_or_b32 v8, 0x8000, v15, v8
	s_or_b32 vcc_lo, s0, vcc_lo
	v_add_co_ci_u32_e32 v14, vcc_lo, 0, v14, vcc_lo
	v_lshlrev_b32_e32 v15, v16, v17
	v_cmp_ne_u32_e32 vcc_lo, 0, v12
	v_lshl_or_b32 v16, v8, 16, v10
	v_cndmask_b32_e64 v12, 0, 1, vcc_lo
	v_cmp_ne_u32_e32 vcc_lo, v15, v9
	v_and_or_b32 v8, 0x1ff, v7, v6
	v_add_nc_u32_e32 v15, 0xfffffc10, v18
	v_lshrrev_b32_e32 v18, 8, v7
	v_bfe_u32 v20, v7, 20, 11
	v_cndmask_b32_e64 v9, 0, 1, vcc_lo
	v_cmp_gt_i32_e32 vcc_lo, 31, v19
	v_cvt_f64_f32_e32 v[5:6], v5
	v_lshrrev_b32_e32 v7, 16, v7
	v_or_b32_e32 v9, v17, v9
	v_cndmask_b32_e32 v10, 0x7c00, v14, vcc_lo
	v_cmp_ne_u32_e32 vcc_lo, 0, v8
	v_lshl_or_b32 v17, v15, 12, v3
	v_lshrrev_b32_e32 v14, 16, v11
	v_cndmask_b32_e64 v8, 0, 1, vcc_lo
	v_cmp_gt_i32_e32 vcc_lo, 1, v15
	v_mul_f16_sdwa v21, v57, v14 dst_sel:DWORD dst_unused:UNUSED_PAD src0_sel:WORD_1 src1_sel:DWORD
	v_and_or_b32 v18, 0xffe, v18, v8
	v_sub_nc_u32_e32 v8, 0x3f1, v20
	v_cndmask_b32_e32 v17, v17, v9, vcc_lo
	v_lshl_or_b32 v9, v12, 9, 0x7c00
	v_cmp_eq_u32_e32 vcc_lo, 0x40f, v19
	v_or_b32_e32 v12, 0x1000, v18
	v_med3_i32 v22, v8, 0, 13
	v_and_b32_e32 v23, 7, v17
	v_fmac_f16_e32 v21, v57, v11
	v_cndmask_b32_e32 v19, v10, v9, vcc_lo
	v_mul_f64 v[5:6], v[5:6], s[2:3]
	v_lshrrev_b32_e32 v10, v22, v12
	v_cmp_lt_i32_e32 vcc_lo, 5, v23
	v_cmp_eq_u32_e64 s0, 3, v23
	v_cvt_f32_f16_e32 v8, v21
	v_lshrrev_b32_e32 v21, 16, v13
	v_lshrrev_b32_e32 v13, 2, v17
	v_lshlrev_b32_e32 v17, v22, v10
	s_or_b32 vcc_lo, s0, vcc_lo
	v_cvt_f64_f32_e32 v[8:9], v8
	v_mul_f16_sdwa v11, v57, v11 dst_sel:DWORD dst_unused:UNUSED_PAD src0_sel:WORD_1 src1_sel:DWORD
	v_add_co_ci_u32_e32 v13, vcc_lo, 0, v13, vcc_lo
	v_cmp_ne_u32_e32 vcc_lo, v17, v12
	v_and_or_b32 v19, 0x8000, v21, v19
	v_fma_f16 v11, v57, v14, -v11
	v_add_nc_u32_e32 v14, 0xfffffc10, v20
	v_cndmask_b32_e64 v12, 0, 1, vcc_lo
	v_cmp_ne_u32_e32 vcc_lo, 0, v3
	v_cvt_f32_f16_e32 v11, v11
	v_lshl_or_b32 v20, v14, 12, v18
	v_and_or_b32 v5, 0x1ff, v6, v5
	v_or_b32_e32 v17, v10, v12
	v_cndmask_b32_e64 v3, 0, 1, vcc_lo
	v_cmp_gt_i32_e32 vcc_lo, 31, v15
	v_cvt_f64_f32_e32 v[10:11], v11
	v_and_b32_e32 v19, 0xffff, v19
	v_lshl_or_b32 v3, v3, 9, 0x7c00
	v_cndmask_b32_e32 v22, 0x7c00, v13, vcc_lo
	v_add_co_u32 v12, vcc_lo, v0, s5
	v_add_co_ci_u32_e32 v13, vcc_lo, s4, v1, vcc_lo
	v_cmp_gt_i32_e32 vcc_lo, 1, v14
	v_mul_f64 v[8:9], v[8:9], s[2:3]
	v_cndmask_b32_e32 v17, v20, v17, vcc_lo
	v_cmp_eq_u32_e32 vcc_lo, 0x40f, v15
	v_bfe_u32 v20, v6, 20, 11
	v_and_b32_e32 v23, 7, v17
	v_cndmask_b32_e32 v15, v22, v3, vcc_lo
	v_cmp_ne_u32_e32 vcc_lo, 0, v5
	v_lshrrev_b32_e32 v5, 8, v6
	v_lshrrev_b32_e32 v22, 16, v4
	v_sub_nc_u32_e32 v21, 0x3f1, v20
	v_cmp_eq_u32_e64 s0, 3, v23
	v_cndmask_b32_e64 v3, 0, 1, vcc_lo
	v_cmp_lt_i32_e32 vcc_lo, 5, v23
	v_lshrrev_b32_e32 v17, 2, v17
	v_lshrrev_b32_e32 v6, 16, v6
	v_and_or_b32 v5, 0xffe, v5, v3
	v_mul_f64 v[3:4], v[10:11], s[2:3]
	v_and_or_b32 v10, 0x8000, v22, v15
	v_med3_i32 v15, v21, 0, 13
	v_and_or_b32 v8, 0x1ff, v9, v8
	v_or_b32_e32 v11, 0x1000, v5
	s_or_b32 vcc_lo, s0, vcc_lo
	v_lshrrev_b32_e32 v22, 8, v9
	v_add_co_ci_u32_e32 v17, vcc_lo, 0, v17, vcc_lo
	v_lshrrev_b32_e32 v21, v15, v11
	v_cmp_ne_u32_e32 vcc_lo, 0, v8
	v_bfe_u32 v23, v9, 20, 11
	v_lshrrev_b32_e32 v9, 16, v9
	v_lshl_or_b32 v10, v10, 16, v19
	v_lshlrev_b32_e32 v15, v15, v21
	v_cndmask_b32_e64 v8, 0, 1, vcc_lo
	v_cmp_ne_u32_e32 vcc_lo, 0, v18
	v_and_or_b32 v8, 0xffe, v22, v8
	v_cndmask_b32_e64 v18, 0, 1, vcc_lo
	v_cmp_ne_u32_e32 vcc_lo, v15, v11
	v_sub_nc_u32_e32 v22, 0x3f1, v23
	v_and_or_b32 v3, 0x1ff, v4, v3
	v_add_nc_u32_e32 v15, 0xfffffc10, v20
	v_or_b32_e32 v20, 0x1000, v8
	v_cndmask_b32_e64 v11, 0, 1, vcc_lo
	v_cmp_gt_i32_e32 vcc_lo, 31, v14
	v_med3_i32 v22, v22, 0, 13
	v_lshrrev_b32_e32 v24, 8, v4
	v_bfe_u32 v25, v4, 20, 11
	v_or_b32_e32 v11, v21, v11
	v_cndmask_b32_e32 v17, 0x7c00, v17, vcc_lo
	v_cmp_ne_u32_e32 vcc_lo, 0, v3
	v_lshl_or_b32 v21, v15, 12, v5
	v_lshrrev_b32_e32 v26, v22, v20
	v_lshl_or_b32 v18, v18, 9, 0x7c00
	v_cndmask_b32_e64 v3, 0, 1, vcc_lo
	v_cmp_gt_i32_e32 vcc_lo, 1, v15
	v_and_or_b32 v3, 0xffe, v24, v3
	v_sub_nc_u32_e32 v24, 0x3f1, v25
	v_cndmask_b32_e32 v11, v21, v11, vcc_lo
	v_lshlrev_b32_e32 v21, v22, v26
	v_cmp_eq_u32_e32 vcc_lo, 0x40f, v14
	v_or_b32_e32 v22, 0x1000, v3
	v_med3_i32 v24, v24, 0, 13
	v_and_b32_e32 v27, 7, v11
	v_lshrrev_b32_e32 v11, 2, v11
	v_cndmask_b32_e32 v14, v17, v18, vcc_lo
	v_cmp_ne_u32_e32 vcc_lo, v21, v20
	v_add_nc_u32_e32 v18, 0xfffffc10, v23
	v_lshrrev_b32_e32 v20, v24, v22
	v_cmp_eq_u32_e64 s0, 3, v27
	v_and_or_b32 v7, 0x8000, v7, v14
	v_cndmask_b32_e64 v17, 0, 1, vcc_lo
	v_lshl_or_b32 v21, v18, 12, v8
	v_lshlrev_b32_e32 v23, v24, v20
	v_cmp_gt_i32_e64 s1, 1, v18
	v_cmp_lt_i32_e32 vcc_lo, 5, v27
	v_or_b32_e32 v17, v26, v17
	s_or_b32 vcc_lo, s0, vcc_lo
	v_cndmask_b32_e64 v17, v21, v17, s1
	v_cmp_ne_u32_e64 s1, v23, v22
	v_add_nc_u32_e32 v22, 0xfffffc10, v25
	v_add_co_ci_u32_e32 v11, vcc_lo, 0, v11, vcc_lo
	v_and_b32_e32 v23, 7, v17
	v_cndmask_b32_e64 v21, 0, 1, s1
	v_cmp_ne_u32_e32 vcc_lo, 0, v5
	v_cmp_gt_i32_e64 s0, 1, v22
	v_lshrrev_b32_e32 v17, 2, v17
	v_cmp_gt_i32_e64 s1, 31, v15
	v_or_b32_e32 v20, v20, v21
	v_lshl_or_b32 v21, v22, 12, v3
	v_cndmask_b32_e64 v5, 0, 1, vcc_lo
	v_cmp_lt_i32_e32 vcc_lo, 5, v23
	v_cndmask_b32_e64 v11, 0x7c00, v11, s1
	v_cmp_eq_u32_e64 s1, 0x40f, v15
	v_cndmask_b32_e64 v14, v21, v20, s0
	v_cmp_eq_u32_e64 s0, 3, v23
	v_lshl_or_b32 v5, v5, 9, 0x7c00
	v_and_b32_e32 v20, 7, v14
	s_or_b32 vcc_lo, s0, vcc_lo
	v_cndmask_b32_e64 v5, v11, v5, s1
	v_add_co_ci_u32_e32 v17, vcc_lo, 0, v17, vcc_lo
	v_cmp_ne_u32_e32 vcc_lo, 0, v8
	v_cmp_eq_u32_e64 s0, 3, v20
	v_lshrrev_b32_e32 v11, 2, v14
	v_cmp_gt_i32_e64 s1, 31, v18
	v_and_or_b32 v5, 0x8000, v6, v5
	v_cndmask_b32_e64 v8, 0, 1, vcc_lo
	v_cmp_lt_i32_e32 vcc_lo, 5, v20
	v_and_b32_e32 v6, 0xffff, v7
	v_cndmask_b32_e64 v14, 0x7c00, v17, s1
	v_lshl_or_b32 v8, v8, 9, 0x7c00
	s_or_b32 vcc_lo, s0, vcc_lo
	v_add_co_ci_u32_e32 v11, vcc_lo, 0, v11, vcc_lo
	v_cmp_ne_u32_e32 vcc_lo, 0, v3
	v_cndmask_b32_e64 v3, 0, 1, vcc_lo
	v_cmp_eq_u32_e32 vcc_lo, 0x40f, v18
	v_lshl_or_b32 v3, v3, 9, 0x7c00
	v_cndmask_b32_e32 v8, v14, v8, vcc_lo
	v_cmp_gt_i32_e32 vcc_lo, 31, v22
	v_and_or_b32 v7, 0x8000, v9, v8
	v_cndmask_b32_e32 v11, 0x7c00, v11, vcc_lo
	v_cmp_eq_u32_e32 vcc_lo, 0x40f, v22
	v_lshrrev_b32_e32 v9, 16, v4
	v_and_b32_e32 v7, 0xffff, v7
	v_cndmask_b32_e32 v8, v11, v3, vcc_lo
	v_add_co_u32 v3, vcc_lo, v12, s5
	v_add_co_ci_u32_e32 v4, vcc_lo, s4, v13, vcc_lo
	v_lshl_or_b32 v11, v5, 16, v6
	v_and_or_b32 v8, 0x8000, v9, v8
	v_add_co_u32 v5, vcc_lo, v3, s5
	v_add_co_ci_u32_e32 v6, vcc_lo, s4, v4, vcc_lo
	v_lshl_or_b32 v9, v8, 16, v7
	v_add_co_u32 v7, vcc_lo, v5, s5
	v_add_co_ci_u32_e32 v8, vcc_lo, s4, v6, vcc_lo
	global_store_dword v[0:1], v2, off
	global_store_dword v[12:13], v16, off
	;; [unrolled: 1-line block ×5, first 2 shown]
.LBB0_2:
	s_endpgm
	.section	.rodata,"a",@progbits
	.p2align	6, 0x0
	.amdhsa_kernel bluestein_single_back_len150_dim1_half_op_CI_CI
		.amdhsa_group_segment_fixed_size 7200
		.amdhsa_private_segment_fixed_size 0
		.amdhsa_kernarg_size 104
		.amdhsa_user_sgpr_count 6
		.amdhsa_user_sgpr_private_segment_buffer 1
		.amdhsa_user_sgpr_dispatch_ptr 0
		.amdhsa_user_sgpr_queue_ptr 0
		.amdhsa_user_sgpr_kernarg_segment_ptr 1
		.amdhsa_user_sgpr_dispatch_id 0
		.amdhsa_user_sgpr_flat_scratch_init 0
		.amdhsa_user_sgpr_private_segment_size 0
		.amdhsa_wavefront_size32 1
		.amdhsa_uses_dynamic_stack 0
		.amdhsa_system_sgpr_private_segment_wavefront_offset 0
		.amdhsa_system_sgpr_workgroup_id_x 1
		.amdhsa_system_sgpr_workgroup_id_y 0
		.amdhsa_system_sgpr_workgroup_id_z 0
		.amdhsa_system_sgpr_workgroup_info 0
		.amdhsa_system_vgpr_workitem_id 0
		.amdhsa_next_free_vgpr 139
		.amdhsa_next_free_sgpr 20
		.amdhsa_reserve_vcc 1
		.amdhsa_reserve_flat_scratch 0
		.amdhsa_float_round_mode_32 0
		.amdhsa_float_round_mode_16_64 0
		.amdhsa_float_denorm_mode_32 3
		.amdhsa_float_denorm_mode_16_64 3
		.amdhsa_dx10_clamp 1
		.amdhsa_ieee_mode 1
		.amdhsa_fp16_overflow 0
		.amdhsa_workgroup_processor_mode 1
		.amdhsa_memory_ordered 1
		.amdhsa_forward_progress 0
		.amdhsa_shared_vgpr_count 0
		.amdhsa_exception_fp_ieee_invalid_op 0
		.amdhsa_exception_fp_denorm_src 0
		.amdhsa_exception_fp_ieee_div_zero 0
		.amdhsa_exception_fp_ieee_overflow 0
		.amdhsa_exception_fp_ieee_underflow 0
		.amdhsa_exception_fp_ieee_inexact 0
		.amdhsa_exception_int_div_zero 0
	.end_amdhsa_kernel
	.text
.Lfunc_end0:
	.size	bluestein_single_back_len150_dim1_half_op_CI_CI, .Lfunc_end0-bluestein_single_back_len150_dim1_half_op_CI_CI
                                        ; -- End function
	.section	.AMDGPU.csdata,"",@progbits
; Kernel info:
; codeLenInByte = 38696
; NumSgprs: 22
; NumVgprs: 139
; ScratchSize: 0
; MemoryBound: 0
; FloatMode: 240
; IeeeMode: 1
; LDSByteSize: 7200 bytes/workgroup (compile time only)
; SGPRBlocks: 2
; VGPRBlocks: 17
; NumSGPRsForWavesPerEU: 22
; NumVGPRsForWavesPerEU: 139
; Occupancy: 7
; WaveLimiterHint : 1
; COMPUTE_PGM_RSRC2:SCRATCH_EN: 0
; COMPUTE_PGM_RSRC2:USER_SGPR: 6
; COMPUTE_PGM_RSRC2:TRAP_HANDLER: 0
; COMPUTE_PGM_RSRC2:TGID_X_EN: 1
; COMPUTE_PGM_RSRC2:TGID_Y_EN: 0
; COMPUTE_PGM_RSRC2:TGID_Z_EN: 0
; COMPUTE_PGM_RSRC2:TIDIG_COMP_CNT: 0
	.text
	.p2alignl 6, 3214868480
	.fill 48, 4, 3214868480
	.type	__hip_cuid_643bd1d80ffc34ec,@object ; @__hip_cuid_643bd1d80ffc34ec
	.section	.bss,"aw",@nobits
	.globl	__hip_cuid_643bd1d80ffc34ec
__hip_cuid_643bd1d80ffc34ec:
	.byte	0                               ; 0x0
	.size	__hip_cuid_643bd1d80ffc34ec, 1

	.ident	"AMD clang version 19.0.0git (https://github.com/RadeonOpenCompute/llvm-project roc-6.4.0 25133 c7fe45cf4b819c5991fe208aaa96edf142730f1d)"
	.section	".note.GNU-stack","",@progbits
	.addrsig
	.addrsig_sym __hip_cuid_643bd1d80ffc34ec
	.amdgpu_metadata
---
amdhsa.kernels:
  - .args:
      - .actual_access:  read_only
        .address_space:  global
        .offset:         0
        .size:           8
        .value_kind:     global_buffer
      - .actual_access:  read_only
        .address_space:  global
        .offset:         8
        .size:           8
        .value_kind:     global_buffer
      - .actual_access:  read_only
        .address_space:  global
        .offset:         16
        .size:           8
        .value_kind:     global_buffer
      - .actual_access:  read_only
        .address_space:  global
        .offset:         24
        .size:           8
        .value_kind:     global_buffer
      - .actual_access:  read_only
        .address_space:  global
        .offset:         32
        .size:           8
        .value_kind:     global_buffer
      - .offset:         40
        .size:           8
        .value_kind:     by_value
      - .address_space:  global
        .offset:         48
        .size:           8
        .value_kind:     global_buffer
      - .address_space:  global
        .offset:         56
        .size:           8
        .value_kind:     global_buffer
      - .address_space:  global
        .offset:         64
        .size:           8
        .value_kind:     global_buffer
      - .address_space:  global
        .offset:         72
        .size:           8
        .value_kind:     global_buffer
      - .offset:         80
        .size:           4
        .value_kind:     by_value
      - .address_space:  global
        .offset:         88
        .size:           8
        .value_kind:     global_buffer
      - .address_space:  global
        .offset:         96
        .size:           8
        .value_kind:     global_buffer
    .group_segment_fixed_size: 7200
    .kernarg_segment_align: 8
    .kernarg_segment_size: 104
    .language:       OpenCL C
    .language_version:
      - 2
      - 0
    .max_flat_workgroup_size: 60
    .name:           bluestein_single_back_len150_dim1_half_op_CI_CI
    .private_segment_fixed_size: 0
    .sgpr_count:     22
    .sgpr_spill_count: 0
    .symbol:         bluestein_single_back_len150_dim1_half_op_CI_CI.kd
    .uniform_work_group_size: 1
    .uses_dynamic_stack: false
    .vgpr_count:     139
    .vgpr_spill_count: 0
    .wavefront_size: 32
    .workgroup_processor_mode: 1
amdhsa.target:   amdgcn-amd-amdhsa--gfx1030
amdhsa.version:
  - 1
  - 2
...

	.end_amdgpu_metadata
